;; amdgpu-corpus repo=ROCm/rocSPARSE kind=compiled arch=gfx1100 opt=O3
	.text
	.amdgcn_target "amdgcn-amd-amdhsa--gfx1100"
	.amdhsa_code_object_version 6
	.section	.text._ZN9rocsparseL23coomvn_aos_atomic_loopsILj256ELj1EiffffEEvlNS_24const_host_device_scalarIT5_EEPKT1_PKT2_PKT3_PT4_21rocsparse_index_base_b,"axG",@progbits,_ZN9rocsparseL23coomvn_aos_atomic_loopsILj256ELj1EiffffEEvlNS_24const_host_device_scalarIT5_EEPKT1_PKT2_PKT3_PT4_21rocsparse_index_base_b,comdat
	.globl	_ZN9rocsparseL23coomvn_aos_atomic_loopsILj256ELj1EiffffEEvlNS_24const_host_device_scalarIT5_EEPKT1_PKT2_PKT3_PT4_21rocsparse_index_base_b ; -- Begin function _ZN9rocsparseL23coomvn_aos_atomic_loopsILj256ELj1EiffffEEvlNS_24const_host_device_scalarIT5_EEPKT1_PKT2_PKT3_PT4_21rocsparse_index_base_b
	.p2align	8
	.type	_ZN9rocsparseL23coomvn_aos_atomic_loopsILj256ELj1EiffffEEvlNS_24const_host_device_scalarIT5_EEPKT1_PKT2_PKT3_PT4_21rocsparse_index_base_b,@function
_ZN9rocsparseL23coomvn_aos_atomic_loopsILj256ELj1EiffffEEvlNS_24const_host_device_scalarIT5_EEPKT1_PKT2_PKT3_PT4_21rocsparse_index_base_b: ; @_ZN9rocsparseL23coomvn_aos_atomic_loopsILj256ELj1EiffffEEvlNS_24const_host_device_scalarIT5_EEPKT1_PKT2_PKT3_PT4_21rocsparse_index_base_b
; %bb.0:
	s_clause 0x1
	s_load_b64 s[2:3], s[0:1], 0x30
	s_load_b128 s[4:7], s[0:1], 0x0
	s_waitcnt lgkmcnt(0)
	s_bitcmp1_b32 s3, 0
	s_cselect_b32 s3, -1, 0
	s_delay_alu instid0(SALU_CYCLE_1)
	s_and_b32 vcc_lo, exec_lo, s3
	s_cbranch_vccnz .LBB0_2
; %bb.1:
	s_load_b32 s6, s[6:7], 0x0
.LBB0_2:
	s_waitcnt lgkmcnt(0)
	v_cmp_eq_f32_e64 s3, s6, 0
	s_delay_alu instid0(VALU_DEP_1)
	s_and_b32 vcc_lo, exec_lo, s3
	s_cbranch_vccnz .LBB0_44
; %bb.3:
	v_lshl_or_b32 v1, s15, 8, v0
	v_dual_mov_b32 v2, 0 :: v_dual_mov_b32 v3, -1
	s_mov_b32 s3, exec_lo
	s_delay_alu instid0(VALU_DEP_1)
	v_cmpx_gt_i64_e64 s[4:5], v[1:2]
	s_cbranch_execz .LBB0_5
; %bb.4:
	s_clause 0x1
	s_load_b128 s[8:11], s[0:1], 0x10
	s_load_b64 s[4:5], s[0:1], 0x20
	v_lshlrev_b64 v[3:4], 3, v[1:2]
	v_lshlrev_b64 v[1:2], 2, v[1:2]
	s_waitcnt lgkmcnt(0)
	s_delay_alu instid0(VALU_DEP_2) | instskip(NEXT) | instid1(VALU_DEP_3)
	v_add_co_u32 v3, vcc_lo, s8, v3
	v_add_co_ci_u32_e32 v4, vcc_lo, s9, v4, vcc_lo
	s_delay_alu instid0(VALU_DEP_3) | instskip(NEXT) | instid1(VALU_DEP_4)
	v_add_co_u32 v1, vcc_lo, s10, v1
	v_add_co_ci_u32_e32 v2, vcc_lo, s11, v2, vcc_lo
	global_load_b64 v[3:4], v[3:4], off slc dlc
	s_waitcnt vmcnt(0)
	v_subrev_nc_u32_e32 v4, s2, v4
	v_subrev_nc_u32_e32 v3, s2, v3
	s_delay_alu instid0(VALU_DEP_2) | instskip(NEXT) | instid1(VALU_DEP_1)
	v_ashrrev_i32_e32 v5, 31, v4
	v_lshlrev_b64 v[4:5], 2, v[4:5]
	s_delay_alu instid0(VALU_DEP_1) | instskip(NEXT) | instid1(VALU_DEP_2)
	v_add_co_u32 v4, vcc_lo, s4, v4
	v_add_co_ci_u32_e32 v5, vcc_lo, s5, v5, vcc_lo
	global_load_b32 v1, v[1:2], off slc dlc
	global_load_b32 v2, v[4:5], off
	s_waitcnt vmcnt(0)
	v_mul_f32_e32 v2, v1, v2
.LBB0_5:
	s_or_b32 exec_lo, exec_lo, s3
	v_lshlrev_b32_e32 v1, 2, v0
	s_mov_b32 s2, exec_lo
	s_delay_alu instid0(VALU_DEP_1)
	v_or_b32_e32 v4, 0x400, v1
	ds_store_2addr_stride64_b32 v1, v3, v2 offset1:4
	s_waitcnt lgkmcnt(0)
	s_barrier
	buffer_gl0_inv
	v_cmpx_ne_u32_e32 0, v0
	s_cbranch_execz .LBB0_9
; %bb.6:
	v_add_nc_u32_e32 v5, -4, v1
	s_mov_b32 s3, exec_lo
	ds_load_b32 v5, v5
	s_waitcnt lgkmcnt(0)
	v_cmpx_eq_u32_e64 v3, v5
	s_cbranch_execz .LBB0_8
; %bb.7:
	v_add_nc_u32_e32 v5, -4, v4
	ds_load_b32 v5, v5
	s_waitcnt lgkmcnt(0)
	v_add_f32_e32 v2, v2, v5
.LBB0_8:
	s_or_b32 exec_lo, exec_lo, s3
.LBB0_9:
	s_delay_alu instid0(SALU_CYCLE_1) | instskip(NEXT) | instid1(SALU_CYCLE_1)
	s_or_b32 exec_lo, exec_lo, s2
	s_mov_b32 s2, exec_lo
	s_barrier
	buffer_gl0_inv
	ds_store_b32 v4, v2
	s_waitcnt lgkmcnt(0)
	s_barrier
	buffer_gl0_inv
	v_cmpx_lt_u32_e32 1, v0
	s_cbranch_execz .LBB0_13
; %bb.10:
	v_add_nc_u32_e32 v5, -8, v1
	s_mov_b32 s3, exec_lo
	ds_load_b32 v5, v5
	s_waitcnt lgkmcnt(0)
	v_cmpx_eq_u32_e64 v3, v5
	s_cbranch_execz .LBB0_12
; %bb.11:
	v_add_nc_u32_e32 v5, -8, v4
	ds_load_b32 v5, v5
	s_waitcnt lgkmcnt(0)
	v_add_f32_e32 v2, v2, v5
.LBB0_12:
	s_or_b32 exec_lo, exec_lo, s3
.LBB0_13:
	s_delay_alu instid0(SALU_CYCLE_1) | instskip(NEXT) | instid1(SALU_CYCLE_1)
	s_or_b32 exec_lo, exec_lo, s2
	s_mov_b32 s2, exec_lo
	s_barrier
	buffer_gl0_inv
	ds_store_b32 v4, v2
	s_waitcnt lgkmcnt(0)
	s_barrier
	buffer_gl0_inv
	v_cmpx_lt_u32_e32 3, v0
	;; [unrolled: 26-line block ×3, first 2 shown]
	s_cbranch_execz .LBB0_21
; %bb.18:
	v_subrev_nc_u32_e32 v5, 32, v1
	s_mov_b32 s3, exec_lo
	ds_load_b32 v5, v5
	s_waitcnt lgkmcnt(0)
	v_cmpx_eq_u32_e64 v3, v5
	s_cbranch_execz .LBB0_20
; %bb.19:
	v_subrev_nc_u32_e32 v5, 32, v4
	ds_load_b32 v5, v5
	s_waitcnt lgkmcnt(0)
	v_add_f32_e32 v2, v2, v5
.LBB0_20:
	s_or_b32 exec_lo, exec_lo, s3
.LBB0_21:
	s_delay_alu instid0(SALU_CYCLE_1) | instskip(NEXT) | instid1(SALU_CYCLE_1)
	s_or_b32 exec_lo, exec_lo, s2
	s_mov_b32 s2, exec_lo
	s_barrier
	buffer_gl0_inv
	ds_store_b32 v4, v2
	s_waitcnt lgkmcnt(0)
	s_barrier
	buffer_gl0_inv
	v_cmpx_lt_u32_e32 15, v0
	s_cbranch_execz .LBB0_25
; %bb.22:
	v_subrev_nc_u32_e32 v5, 64, v1
	s_mov_b32 s3, exec_lo
	ds_load_b32 v5, v5
	s_waitcnt lgkmcnt(0)
	v_cmpx_eq_u32_e64 v3, v5
	s_cbranch_execz .LBB0_24
; %bb.23:
	v_subrev_nc_u32_e32 v5, 64, v4
	ds_load_b32 v5, v5
	s_waitcnt lgkmcnt(0)
	v_add_f32_e32 v2, v2, v5
.LBB0_24:
	s_or_b32 exec_lo, exec_lo, s3
.LBB0_25:
	s_delay_alu instid0(SALU_CYCLE_1) | instskip(NEXT) | instid1(SALU_CYCLE_1)
	s_or_b32 exec_lo, exec_lo, s2
	s_mov_b32 s2, exec_lo
	s_barrier
	buffer_gl0_inv
	ds_store_b32 v4, v2
	s_waitcnt lgkmcnt(0)
	s_barrier
	buffer_gl0_inv
	v_cmpx_lt_u32_e32 31, v0
	s_cbranch_execz .LBB0_29
; %bb.26:
	v_add_nc_u32_e32 v5, 0xffffff80, v1
	s_mov_b32 s3, exec_lo
	ds_load_b32 v5, v5
	s_waitcnt lgkmcnt(0)
	v_cmpx_eq_u32_e64 v3, v5
	s_cbranch_execz .LBB0_28
; %bb.27:
	v_add_nc_u32_e32 v5, 0xffffff80, v4
	ds_load_b32 v5, v5
	s_waitcnt lgkmcnt(0)
	v_add_f32_e32 v2, v2, v5
.LBB0_28:
	s_or_b32 exec_lo, exec_lo, s3
.LBB0_29:
	s_delay_alu instid0(SALU_CYCLE_1) | instskip(NEXT) | instid1(SALU_CYCLE_1)
	s_or_b32 exec_lo, exec_lo, s2
	s_mov_b32 s2, exec_lo
	s_barrier
	buffer_gl0_inv
	ds_store_b32 v4, v2
	s_waitcnt lgkmcnt(0)
	s_barrier
	buffer_gl0_inv
	v_cmpx_lt_u32_e32 63, v0
	s_cbranch_execz .LBB0_33
; %bb.30:
	v_add_nc_u32_e32 v5, 0xffffff00, v1
	s_mov_b32 s3, exec_lo
	ds_load_b32 v5, v5
	s_waitcnt lgkmcnt(0)
	v_cmpx_eq_u32_e64 v3, v5
	s_cbranch_execz .LBB0_32
; %bb.31:
	v_add_nc_u32_e32 v5, 0xffffff00, v4
	ds_load_b32 v5, v5
	s_waitcnt lgkmcnt(0)
	v_add_f32_e32 v2, v2, v5
.LBB0_32:
	s_or_b32 exec_lo, exec_lo, s3
.LBB0_33:
	s_delay_alu instid0(SALU_CYCLE_1)
	s_or_b32 exec_lo, exec_lo, s2
	s_load_b64 s[2:3], s[0:1], 0x28
	s_mov_b32 s0, exec_lo
	s_waitcnt lgkmcnt(0)
	s_barrier
	buffer_gl0_inv
	ds_store_b32 v4, v2
	s_waitcnt lgkmcnt(0)
	s_barrier
	buffer_gl0_inv
	v_cmpx_lt_u32_e32 0x7f, v0
	s_cbranch_execz .LBB0_37
; %bb.34:
	v_add_nc_u32_e32 v5, 0xfffffe00, v1
	s_mov_b32 s1, exec_lo
	ds_load_b32 v5, v5
	s_waitcnt lgkmcnt(0)
	v_cmpx_eq_u32_e64 v3, v5
	s_cbranch_execz .LBB0_36
; %bb.35:
	v_add_nc_u32_e32 v5, 0xfffffe00, v4
	ds_load_b32 v5, v5
	s_waitcnt lgkmcnt(0)
	v_add_f32_e32 v2, v2, v5
.LBB0_36:
	s_or_b32 exec_lo, exec_lo, s1
.LBB0_37:
	s_delay_alu instid0(SALU_CYCLE_1) | instskip(NEXT) | instid1(SALU_CYCLE_1)
	s_or_b32 exec_lo, exec_lo, s0
	s_mov_b32 s1, exec_lo
	s_barrier
	buffer_gl0_inv
	ds_store_b32 v4, v2
	s_waitcnt lgkmcnt(0)
	s_barrier
	buffer_gl0_inv
	v_cmpx_gt_u32_e32 0xff, v0
	s_cbranch_execz .LBB0_41
; %bb.38:
	ds_load_b32 v1, v1 offset:4
	v_cmp_lt_i32_e64 s0, -1, v3
	s_waitcnt lgkmcnt(0)
	v_cmp_ne_u32_e32 vcc_lo, v3, v1
	s_delay_alu instid0(VALU_DEP_2) | instskip(NEXT) | instid1(SALU_CYCLE_1)
	s_and_b32 s0, s0, vcc_lo
	s_and_b32 exec_lo, exec_lo, s0
	s_cbranch_execz .LBB0_41
; %bb.39:
	v_dual_mov_b32 v4, 0 :: v_dual_mul_f32 v1, s6, v2
	s_mov_b32 s0, 0
	s_delay_alu instid0(VALU_DEP_1) | instskip(NEXT) | instid1(VALU_DEP_1)
	v_lshlrev_b64 v[4:5], 2, v[3:4]
	v_add_co_u32 v4, vcc_lo, s2, v4
	s_delay_alu instid0(VALU_DEP_2)
	v_add_co_ci_u32_e32 v5, vcc_lo, s3, v5, vcc_lo
	global_load_b32 v7, v[4:5], off
.LBB0_40:                               ; =>This Inner Loop Header: Depth=1
	s_waitcnt vmcnt(0)
	v_add_f32_e32 v6, v7, v1
	global_atomic_cmpswap_b32 v6, v[4:5], v[6:7], off glc
	s_waitcnt vmcnt(0)
	v_cmp_eq_u32_e32 vcc_lo, v6, v7
	v_mov_b32_e32 v7, v6
	s_or_b32 s0, vcc_lo, s0
	s_delay_alu instid0(SALU_CYCLE_1)
	s_and_not1_b32 exec_lo, exec_lo, s0
	s_cbranch_execnz .LBB0_40
.LBB0_41:
	s_or_b32 exec_lo, exec_lo, s1
	v_cmp_eq_u32_e32 vcc_lo, 0xff, v0
	v_cmp_lt_i32_e64 s0, -1, v3
	s_delay_alu instid0(VALU_DEP_1) | instskip(NEXT) | instid1(SALU_CYCLE_1)
	s_and_b32 s0, vcc_lo, s0
	s_and_saveexec_b32 s1, s0
	s_cbranch_execz .LBB0_44
; %bb.42:
	v_mov_b32_e32 v4, 0
	s_mov_b32 s0, 0
	s_delay_alu instid0(VALU_DEP_1) | instskip(SKIP_1) | instid1(VALU_DEP_2)
	v_lshlrev_b64 v[0:1], 2, v[3:4]
	v_mul_f32_e32 v4, s6, v2
	v_add_co_u32 v0, vcc_lo, s2, v0
	s_delay_alu instid0(VALU_DEP_3)
	v_add_co_ci_u32_e32 v1, vcc_lo, s3, v1, vcc_lo
	global_load_b32 v3, v[0:1], off
.LBB0_43:                               ; =>This Inner Loop Header: Depth=1
	s_waitcnt vmcnt(0)
	v_add_f32_e32 v2, v3, v4
	global_atomic_cmpswap_b32 v2, v[0:1], v[2:3], off glc
	s_waitcnt vmcnt(0)
	v_cmp_eq_u32_e32 vcc_lo, v2, v3
	v_mov_b32_e32 v3, v2
	s_or_b32 s0, vcc_lo, s0
	s_delay_alu instid0(SALU_CYCLE_1)
	s_and_not1_b32 exec_lo, exec_lo, s0
	s_cbranch_execnz .LBB0_43
.LBB0_44:
	s_endpgm
	.section	.rodata,"a",@progbits
	.p2align	6, 0x0
	.amdhsa_kernel _ZN9rocsparseL23coomvn_aos_atomic_loopsILj256ELj1EiffffEEvlNS_24const_host_device_scalarIT5_EEPKT1_PKT2_PKT3_PT4_21rocsparse_index_base_b
		.amdhsa_group_segment_fixed_size 2048
		.amdhsa_private_segment_fixed_size 0
		.amdhsa_kernarg_size 56
		.amdhsa_user_sgpr_count 15
		.amdhsa_user_sgpr_dispatch_ptr 0
		.amdhsa_user_sgpr_queue_ptr 0
		.amdhsa_user_sgpr_kernarg_segment_ptr 1
		.amdhsa_user_sgpr_dispatch_id 0
		.amdhsa_user_sgpr_private_segment_size 0
		.amdhsa_wavefront_size32 1
		.amdhsa_uses_dynamic_stack 0
		.amdhsa_enable_private_segment 0
		.amdhsa_system_sgpr_workgroup_id_x 1
		.amdhsa_system_sgpr_workgroup_id_y 0
		.amdhsa_system_sgpr_workgroup_id_z 0
		.amdhsa_system_sgpr_workgroup_info 0
		.amdhsa_system_vgpr_workitem_id 0
		.amdhsa_next_free_vgpr 8
		.amdhsa_next_free_sgpr 16
		.amdhsa_reserve_vcc 1
		.amdhsa_float_round_mode_32 0
		.amdhsa_float_round_mode_16_64 0
		.amdhsa_float_denorm_mode_32 3
		.amdhsa_float_denorm_mode_16_64 3
		.amdhsa_dx10_clamp 1
		.amdhsa_ieee_mode 1
		.amdhsa_fp16_overflow 0
		.amdhsa_workgroup_processor_mode 1
		.amdhsa_memory_ordered 1
		.amdhsa_forward_progress 0
		.amdhsa_shared_vgpr_count 0
		.amdhsa_exception_fp_ieee_invalid_op 0
		.amdhsa_exception_fp_denorm_src 0
		.amdhsa_exception_fp_ieee_div_zero 0
		.amdhsa_exception_fp_ieee_overflow 0
		.amdhsa_exception_fp_ieee_underflow 0
		.amdhsa_exception_fp_ieee_inexact 0
		.amdhsa_exception_int_div_zero 0
	.end_amdhsa_kernel
	.section	.text._ZN9rocsparseL23coomvn_aos_atomic_loopsILj256ELj1EiffffEEvlNS_24const_host_device_scalarIT5_EEPKT1_PKT2_PKT3_PT4_21rocsparse_index_base_b,"axG",@progbits,_ZN9rocsparseL23coomvn_aos_atomic_loopsILj256ELj1EiffffEEvlNS_24const_host_device_scalarIT5_EEPKT1_PKT2_PKT3_PT4_21rocsparse_index_base_b,comdat
.Lfunc_end0:
	.size	_ZN9rocsparseL23coomvn_aos_atomic_loopsILj256ELj1EiffffEEvlNS_24const_host_device_scalarIT5_EEPKT1_PKT2_PKT3_PT4_21rocsparse_index_base_b, .Lfunc_end0-_ZN9rocsparseL23coomvn_aos_atomic_loopsILj256ELj1EiffffEEvlNS_24const_host_device_scalarIT5_EEPKT1_PKT2_PKT3_PT4_21rocsparse_index_base_b
                                        ; -- End function
	.section	.AMDGPU.csdata,"",@progbits
; Kernel info:
; codeLenInByte = 1520
; NumSgprs: 18
; NumVgprs: 8
; ScratchSize: 0
; MemoryBound: 0
; FloatMode: 240
; IeeeMode: 1
; LDSByteSize: 2048 bytes/workgroup (compile time only)
; SGPRBlocks: 2
; VGPRBlocks: 0
; NumSGPRsForWavesPerEU: 18
; NumVGPRsForWavesPerEU: 8
; Occupancy: 16
; WaveLimiterHint : 1
; COMPUTE_PGM_RSRC2:SCRATCH_EN: 0
; COMPUTE_PGM_RSRC2:USER_SGPR: 15
; COMPUTE_PGM_RSRC2:TRAP_HANDLER: 0
; COMPUTE_PGM_RSRC2:TGID_X_EN: 1
; COMPUTE_PGM_RSRC2:TGID_Y_EN: 0
; COMPUTE_PGM_RSRC2:TGID_Z_EN: 0
; COMPUTE_PGM_RSRC2:TIDIG_COMP_CNT: 0
	.section	.text._ZN9rocsparseL17coomvt_aos_kernelILj1024EiffffEEv20rocsparse_operation_lNS_24const_host_device_scalarIT4_EEPKT0_PKT1_PKT2_PT3_21rocsparse_index_base_b,"axG",@progbits,_ZN9rocsparseL17coomvt_aos_kernelILj1024EiffffEEv20rocsparse_operation_lNS_24const_host_device_scalarIT4_EEPKT0_PKT1_PKT2_PT3_21rocsparse_index_base_b,comdat
	.globl	_ZN9rocsparseL17coomvt_aos_kernelILj1024EiffffEEv20rocsparse_operation_lNS_24const_host_device_scalarIT4_EEPKT0_PKT1_PKT2_PT3_21rocsparse_index_base_b ; -- Begin function _ZN9rocsparseL17coomvt_aos_kernelILj1024EiffffEEv20rocsparse_operation_lNS_24const_host_device_scalarIT4_EEPKT0_PKT1_PKT2_PT3_21rocsparse_index_base_b
	.p2align	8
	.type	_ZN9rocsparseL17coomvt_aos_kernelILj1024EiffffEEv20rocsparse_operation_lNS_24const_host_device_scalarIT4_EEPKT0_PKT1_PKT2_PT3_21rocsparse_index_base_b,@function
_ZN9rocsparseL17coomvt_aos_kernelILj1024EiffffEEv20rocsparse_operation_lNS_24const_host_device_scalarIT4_EEPKT0_PKT1_PKT2_PT3_21rocsparse_index_base_b: ; @_ZN9rocsparseL17coomvt_aos_kernelILj1024EiffffEEv20rocsparse_operation_lNS_24const_host_device_scalarIT4_EEPKT0_PKT1_PKT2_PT3_21rocsparse_index_base_b
; %bb.0:
	s_clause 0x1
	s_load_b64 s[2:3], s[0:1], 0x38
	s_load_b128 s[4:7], s[0:1], 0x8
	s_waitcnt lgkmcnt(0)
	s_bitcmp1_b32 s3, 0
	s_cselect_b32 s3, -1, 0
	s_delay_alu instid0(SALU_CYCLE_1)
	s_and_b32 vcc_lo, exec_lo, s3
	s_cbranch_vccnz .LBB1_2
; %bb.1:
	s_load_b32 s6, s[6:7], 0x0
.LBB1_2:
	s_waitcnt lgkmcnt(0)
	v_cmp_eq_f32_e64 s3, s6, 0
	s_delay_alu instid0(VALU_DEP_1)
	s_and_b32 vcc_lo, exec_lo, s3
	s_cbranch_vccnz .LBB1_6
; %bb.3:
	s_load_b32 s3, s[0:1], 0x4c
	s_waitcnt lgkmcnt(0)
	s_and_b32 s3, s3, 0xffff
	s_delay_alu instid0(SALU_CYCLE_1) | instskip(SKIP_2) | instid1(VALU_DEP_1)
	v_mad_u64_u32 v[1:2], null, s15, s3, v[0:1]
	v_mov_b32_e32 v2, 0
	s_mov_b32 s3, exec_lo
	v_cmpx_gt_i64_e64 s[4:5], v[1:2]
	s_cbranch_execz .LBB1_6
; %bb.4:
	s_load_b256 s[8:15], s[0:1], 0x18
	v_lshlrev_b64 v[3:4], 3, v[1:2]
	s_mov_b32 s0, 0
	s_waitcnt lgkmcnt(0)
	s_delay_alu instid0(VALU_DEP_1) | instskip(NEXT) | instid1(VALU_DEP_2)
	v_add_co_u32 v3, vcc_lo, s8, v3
	v_add_co_ci_u32_e32 v4, vcc_lo, s9, v4, vcc_lo
	global_load_b64 v[3:4], v[3:4], off
	s_waitcnt vmcnt(0)
	v_subrev_nc_u32_e32 v0, s2, v3
	v_lshlrev_b64 v[2:3], 2, v[1:2]
	v_subrev_nc_u32_e32 v4, s2, v4
	s_delay_alu instid0(VALU_DEP_3) | instskip(NEXT) | instid1(VALU_DEP_3)
	v_ashrrev_i32_e32 v1, 31, v0
	v_add_co_u32 v2, vcc_lo, s10, v2
	s_delay_alu instid0(VALU_DEP_4) | instskip(NEXT) | instid1(VALU_DEP_4)
	v_add_co_ci_u32_e32 v3, vcc_lo, s11, v3, vcc_lo
	v_ashrrev_i32_e32 v5, 31, v4
	s_delay_alu instid0(VALU_DEP_4) | instskip(SKIP_4) | instid1(VALU_DEP_3)
	v_lshlrev_b64 v[0:1], 2, v[0:1]
	global_load_b32 v6, v[2:3], off
	v_lshlrev_b64 v[2:3], 2, v[4:5]
	v_add_co_u32 v4, vcc_lo, s12, v0
	v_add_co_ci_u32_e32 v5, vcc_lo, s13, v1, vcc_lo
	v_add_co_u32 v0, vcc_lo, s14, v2
	s_delay_alu instid0(VALU_DEP_4)
	v_add_co_ci_u32_e32 v1, vcc_lo, s15, v3, vcc_lo
	global_load_b32 v2, v[4:5], off
	global_load_b32 v3, v[0:1], off
	s_waitcnt vmcnt(2)
	v_mul_f32_e32 v4, s6, v6
	s_waitcnt vmcnt(1)
	s_delay_alu instid0(VALU_DEP_1)
	v_mul_f32_e32 v4, v4, v2
.LBB1_5:                                ; =>This Inner Loop Header: Depth=1
	s_waitcnt vmcnt(0)
	s_delay_alu instid0(VALU_DEP_1)
	v_add_f32_e32 v2, v3, v4
	global_atomic_cmpswap_b32 v2, v[0:1], v[2:3], off glc
	s_waitcnt vmcnt(0)
	v_cmp_eq_u32_e32 vcc_lo, v2, v3
	v_mov_b32_e32 v3, v2
	s_or_b32 s0, vcc_lo, s0
	s_delay_alu instid0(SALU_CYCLE_1)
	s_and_not1_b32 exec_lo, exec_lo, s0
	s_cbranch_execnz .LBB1_5
.LBB1_6:
	s_endpgm
	.section	.rodata,"a",@progbits
	.p2align	6, 0x0
	.amdhsa_kernel _ZN9rocsparseL17coomvt_aos_kernelILj1024EiffffEEv20rocsparse_operation_lNS_24const_host_device_scalarIT4_EEPKT0_PKT1_PKT2_PT3_21rocsparse_index_base_b
		.amdhsa_group_segment_fixed_size 0
		.amdhsa_private_segment_fixed_size 0
		.amdhsa_kernarg_size 320
		.amdhsa_user_sgpr_count 15
		.amdhsa_user_sgpr_dispatch_ptr 0
		.amdhsa_user_sgpr_queue_ptr 0
		.amdhsa_user_sgpr_kernarg_segment_ptr 1
		.amdhsa_user_sgpr_dispatch_id 0
		.amdhsa_user_sgpr_private_segment_size 0
		.amdhsa_wavefront_size32 1
		.amdhsa_uses_dynamic_stack 0
		.amdhsa_enable_private_segment 0
		.amdhsa_system_sgpr_workgroup_id_x 1
		.amdhsa_system_sgpr_workgroup_id_y 0
		.amdhsa_system_sgpr_workgroup_id_z 0
		.amdhsa_system_sgpr_workgroup_info 0
		.amdhsa_system_vgpr_workitem_id 0
		.amdhsa_next_free_vgpr 7
		.amdhsa_next_free_sgpr 16
		.amdhsa_reserve_vcc 1
		.amdhsa_float_round_mode_32 0
		.amdhsa_float_round_mode_16_64 0
		.amdhsa_float_denorm_mode_32 3
		.amdhsa_float_denorm_mode_16_64 3
		.amdhsa_dx10_clamp 1
		.amdhsa_ieee_mode 1
		.amdhsa_fp16_overflow 0
		.amdhsa_workgroup_processor_mode 1
		.amdhsa_memory_ordered 1
		.amdhsa_forward_progress 0
		.amdhsa_shared_vgpr_count 0
		.amdhsa_exception_fp_ieee_invalid_op 0
		.amdhsa_exception_fp_denorm_src 0
		.amdhsa_exception_fp_ieee_div_zero 0
		.amdhsa_exception_fp_ieee_overflow 0
		.amdhsa_exception_fp_ieee_underflow 0
		.amdhsa_exception_fp_ieee_inexact 0
		.amdhsa_exception_int_div_zero 0
	.end_amdhsa_kernel
	.section	.text._ZN9rocsparseL17coomvt_aos_kernelILj1024EiffffEEv20rocsparse_operation_lNS_24const_host_device_scalarIT4_EEPKT0_PKT1_PKT2_PT3_21rocsparse_index_base_b,"axG",@progbits,_ZN9rocsparseL17coomvt_aos_kernelILj1024EiffffEEv20rocsparse_operation_lNS_24const_host_device_scalarIT4_EEPKT0_PKT1_PKT2_PT3_21rocsparse_index_base_b,comdat
.Lfunc_end1:
	.size	_ZN9rocsparseL17coomvt_aos_kernelILj1024EiffffEEv20rocsparse_operation_lNS_24const_host_device_scalarIT4_EEPKT0_PKT1_PKT2_PT3_21rocsparse_index_base_b, .Lfunc_end1-_ZN9rocsparseL17coomvt_aos_kernelILj1024EiffffEEv20rocsparse_operation_lNS_24const_host_device_scalarIT4_EEPKT0_PKT1_PKT2_PT3_21rocsparse_index_base_b
                                        ; -- End function
	.section	.AMDGPU.csdata,"",@progbits
; Kernel info:
; codeLenInByte = 368
; NumSgprs: 18
; NumVgprs: 7
; ScratchSize: 0
; MemoryBound: 0
; FloatMode: 240
; IeeeMode: 1
; LDSByteSize: 0 bytes/workgroup (compile time only)
; SGPRBlocks: 2
; VGPRBlocks: 0
; NumSGPRsForWavesPerEU: 18
; NumVGPRsForWavesPerEU: 7
; Occupancy: 16
; WaveLimiterHint : 1
; COMPUTE_PGM_RSRC2:SCRATCH_EN: 0
; COMPUTE_PGM_RSRC2:USER_SGPR: 15
; COMPUTE_PGM_RSRC2:TRAP_HANDLER: 0
; COMPUTE_PGM_RSRC2:TGID_X_EN: 1
; COMPUTE_PGM_RSRC2:TGID_Y_EN: 0
; COMPUTE_PGM_RSRC2:TGID_Z_EN: 0
; COMPUTE_PGM_RSRC2:TIDIG_COMP_CNT: 0
	.section	.text._ZN9rocsparseL26coomvn_aos_segmented_loopsILj256EiffffEEvlT0_NS_24const_host_device_scalarIT4_EEPKS1_PKT1_PKT2_PT3_PS1_PS3_21rocsparse_index_base_b,"axG",@progbits,_ZN9rocsparseL26coomvn_aos_segmented_loopsILj256EiffffEEvlT0_NS_24const_host_device_scalarIT4_EEPKS1_PKT1_PKT2_PT3_PS1_PS3_21rocsparse_index_base_b,comdat
	.globl	_ZN9rocsparseL26coomvn_aos_segmented_loopsILj256EiffffEEvlT0_NS_24const_host_device_scalarIT4_EEPKS1_PKT1_PKT2_PT3_PS1_PS3_21rocsparse_index_base_b ; -- Begin function _ZN9rocsparseL26coomvn_aos_segmented_loopsILj256EiffffEEvlT0_NS_24const_host_device_scalarIT4_EEPKS1_PKT1_PKT2_PT3_PS1_PS3_21rocsparse_index_base_b
	.p2align	8
	.type	_ZN9rocsparseL26coomvn_aos_segmented_loopsILj256EiffffEEvlT0_NS_24const_host_device_scalarIT4_EEPKS1_PKT1_PKT2_PT3_PS1_PS3_21rocsparse_index_base_b,@function
_ZN9rocsparseL26coomvn_aos_segmented_loopsILj256EiffffEEvlT0_NS_24const_host_device_scalarIT4_EEPKS1_PKT1_PKT2_PT3_PS1_PS3_21rocsparse_index_base_b: ; @_ZN9rocsparseL26coomvn_aos_segmented_loopsILj256EiffffEEvlT0_NS_24const_host_device_scalarIT4_EEPKS1_PKT1_PKT2_PT3_PS1_PS3_21rocsparse_index_base_b
; %bb.0:
	s_clause 0x1
	s_load_b64 s[24:25], s[0:1], 0x48
	s_load_b64 s[20:21], s[0:1], 0x10
	s_mov_b32 s22, s15
	s_waitcnt lgkmcnt(0)
	s_bitcmp1_b32 s25, 0
	s_cselect_b32 s2, -1, 0
	s_delay_alu instid0(SALU_CYCLE_1)
	s_and_b32 vcc_lo, exec_lo, s2
	s_cbranch_vccnz .LBB2_2
; %bb.1:
	s_load_b32 s20, s[20:21], 0x0
.LBB2_2:
	s_waitcnt lgkmcnt(0)
	v_cmp_eq_f32_e64 s2, s20, 0
	s_delay_alu instid0(VALU_DEP_1)
	s_and_b32 vcc_lo, exec_lo, s2
	s_cbranch_vccnz .LBB2_89
; %bb.3:
	s_clause 0x3
	s_load_b32 s21, s[0:1], 0x8
	s_load_b64 s[26:27], s[0:1], 0x0
	s_load_b128 s[16:19], s[0:1], 0x18
	s_load_b64 s[30:31], s[0:1], 0x28
	v_dual_mov_b32 v2, 0 :: v_dual_mov_b32 v3, -1
	s_waitcnt lgkmcnt(0)
	s_mul_i32 s2, s22, s21
	s_delay_alu instid0(SALU_CYCLE_1) | instskip(SKIP_1) | instid1(VALU_DEP_1)
	v_lshl_or_b32 v1, s2, 8, v0
	s_mov_b32 s2, exec_lo
	v_lshlrev_b64 v[5:6], 3, v[1:2]
	v_lshlrev_b64 v[7:8], 2, v[1:2]
	v_cmpx_gt_i64_e64 s[26:27], v[1:2]
	s_cbranch_execz .LBB2_5
; %bb.4:
	s_delay_alu instid0(VALU_DEP_3) | instskip(NEXT) | instid1(VALU_DEP_4)
	v_add_co_u32 v2, vcc_lo, s16, v5
	v_add_co_ci_u32_e32 v3, vcc_lo, s17, v6, vcc_lo
	s_delay_alu instid0(VALU_DEP_4) | instskip(SKIP_3) | instid1(SALU_CYCLE_1)
	v_add_co_u32 v9, vcc_lo, s18, v7
	v_add_co_ci_u32_e32 v10, vcc_lo, s19, v8, vcc_lo
	global_load_b64 v[2:3], v[2:3], off slc dlc
	s_ashr_i32 s25, s24, 31
	s_lshl_b64 s[4:5], s[24:25], 2
	s_waitcnt vmcnt(0)
	v_ashrrev_i32_e32 v4, 31, v3
	s_delay_alu instid0(VALU_DEP_1) | instskip(NEXT) | instid1(VALU_DEP_1)
	v_lshlrev_b64 v[3:4], 2, v[3:4]
	v_add_co_u32 v3, vcc_lo, s30, v3
	s_delay_alu instid0(VALU_DEP_2) | instskip(NEXT) | instid1(VALU_DEP_2)
	v_add_co_ci_u32_e32 v4, vcc_lo, s31, v4, vcc_lo
	v_sub_co_u32 v3, vcc_lo, v3, s4
	s_delay_alu instid0(VALU_DEP_2)
	v_subrev_co_ci_u32_e32 v4, vcc_lo, s5, v4, vcc_lo
	global_load_b32 v9, v[9:10], off slc dlc
	global_load_b32 v4, v[3:4], off
	v_subrev_nc_u32_e32 v3, s24, v2
	s_waitcnt vmcnt(0)
	v_mul_f32_e32 v2, v9, v4
.LBB2_5:
	s_or_b32 exec_lo, exec_lo, s2
	v_lshlrev_b32_e32 v11, 2, v0
	v_cmp_eq_u32_e32 vcc_lo, 0, v0
	v_cmp_ne_u32_e64 s2, 0, v0
	s_delay_alu instid0(VALU_DEP_3)
	v_or_b32_e32 v12, 0x400, v11
	v_add_nc_u32_e32 v13, -4, v11
	ds_store_2addr_stride64_b32 v11, v3, v2 offset1:4
	s_waitcnt lgkmcnt(0)
	s_barrier
	buffer_gl0_inv
	s_and_saveexec_b32 s4, s2
	s_cbranch_execz .LBB2_9
; %bb.6:
	ds_load_b32 v4, v13
	s_mov_b32 s5, exec_lo
	s_waitcnt lgkmcnt(0)
	v_cmpx_eq_u32_e64 v3, v4
	s_cbranch_execz .LBB2_8
; %bb.7:
	v_add_nc_u32_e32 v4, -4, v12
	ds_load_b32 v4, v4
	s_waitcnt lgkmcnt(0)
	v_add_f32_e32 v2, v2, v4
.LBB2_8:
	s_or_b32 exec_lo, exec_lo, s5
.LBB2_9:
	s_delay_alu instid0(SALU_CYCLE_1)
	s_or_b32 exec_lo, exec_lo, s4
	v_cmp_lt_u32_e64 s3, 1, v0
	v_add_nc_u32_e32 v14, -8, v11
	s_barrier
	buffer_gl0_inv
	ds_store_b32 v12, v2
	s_waitcnt lgkmcnt(0)
	s_barrier
	buffer_gl0_inv
	s_and_saveexec_b32 s5, s3
	s_cbranch_execz .LBB2_13
; %bb.10:
	ds_load_b32 v4, v14
	s_mov_b32 s6, exec_lo
	s_waitcnt lgkmcnt(0)
	v_cmpx_eq_u32_e64 v3, v4
	s_cbranch_execz .LBB2_12
; %bb.11:
	v_add_nc_u32_e32 v4, -8, v12
	ds_load_b32 v4, v4
	s_waitcnt lgkmcnt(0)
	v_add_f32_e32 v2, v2, v4
.LBB2_12:
	s_or_b32 exec_lo, exec_lo, s6
.LBB2_13:
	s_delay_alu instid0(SALU_CYCLE_1)
	s_or_b32 exec_lo, exec_lo, s5
	v_cmp_lt_u32_e64 s4, 3, v0
	v_add_nc_u32_e32 v15, -16, v11
	s_barrier
	buffer_gl0_inv
	ds_store_b32 v12, v2
	s_waitcnt lgkmcnt(0)
	s_barrier
	buffer_gl0_inv
	s_and_saveexec_b32 s6, s4
	s_cbranch_execz .LBB2_17
; %bb.14:
	ds_load_b32 v4, v15
	s_mov_b32 s7, exec_lo
	s_waitcnt lgkmcnt(0)
	v_cmpx_eq_u32_e64 v3, v4
	s_cbranch_execz .LBB2_16
; %bb.15:
	v_add_nc_u32_e32 v4, -16, v12
	ds_load_b32 v4, v4
	s_waitcnt lgkmcnt(0)
	v_add_f32_e32 v2, v2, v4
.LBB2_16:
	s_or_b32 exec_lo, exec_lo, s7
.LBB2_17:
	s_delay_alu instid0(SALU_CYCLE_1)
	s_or_b32 exec_lo, exec_lo, s6
	v_cmp_lt_u32_e64 s5, 7, v0
	v_subrev_nc_u32_e32 v16, 32, v11
	s_barrier
	buffer_gl0_inv
	ds_store_b32 v12, v2
	s_waitcnt lgkmcnt(0)
	s_barrier
	buffer_gl0_inv
	s_and_saveexec_b32 s7, s5
	s_cbranch_execz .LBB2_21
; %bb.18:
	ds_load_b32 v4, v16
	s_mov_b32 s8, exec_lo
	s_waitcnt lgkmcnt(0)
	v_cmpx_eq_u32_e64 v3, v4
	s_cbranch_execz .LBB2_20
; %bb.19:
	v_subrev_nc_u32_e32 v4, 32, v12
	ds_load_b32 v4, v4
	s_waitcnt lgkmcnt(0)
	v_add_f32_e32 v2, v2, v4
.LBB2_20:
	s_or_b32 exec_lo, exec_lo, s8
.LBB2_21:
	s_delay_alu instid0(SALU_CYCLE_1)
	s_or_b32 exec_lo, exec_lo, s7
	v_cmp_lt_u32_e64 s6, 15, v0
	v_subrev_nc_u32_e32 v17, 64, v11
	s_barrier
	buffer_gl0_inv
	ds_store_b32 v12, v2
	s_waitcnt lgkmcnt(0)
	s_barrier
	buffer_gl0_inv
	s_and_saveexec_b32 s8, s6
	s_cbranch_execz .LBB2_25
; %bb.22:
	ds_load_b32 v4, v17
	s_mov_b32 s9, exec_lo
	s_waitcnt lgkmcnt(0)
	v_cmpx_eq_u32_e64 v3, v4
	s_cbranch_execz .LBB2_24
; %bb.23:
	v_subrev_nc_u32_e32 v4, 64, v12
	ds_load_b32 v4, v4
	s_waitcnt lgkmcnt(0)
	v_add_f32_e32 v2, v2, v4
.LBB2_24:
	s_or_b32 exec_lo, exec_lo, s9
.LBB2_25:
	s_delay_alu instid0(SALU_CYCLE_1)
	s_or_b32 exec_lo, exec_lo, s8
	v_cmp_lt_u32_e64 s7, 31, v0
	v_add_nc_u32_e32 v18, 0xffffff80, v11
	s_barrier
	buffer_gl0_inv
	ds_store_b32 v12, v2
	s_waitcnt lgkmcnt(0)
	s_barrier
	buffer_gl0_inv
	s_and_saveexec_b32 s9, s7
	s_cbranch_execz .LBB2_29
; %bb.26:
	ds_load_b32 v4, v18
	s_mov_b32 s10, exec_lo
	s_waitcnt lgkmcnt(0)
	v_cmpx_eq_u32_e64 v3, v4
	s_cbranch_execz .LBB2_28
; %bb.27:
	v_add_nc_u32_e32 v4, 0xffffff80, v12
	ds_load_b32 v4, v4
	s_waitcnt lgkmcnt(0)
	v_add_f32_e32 v2, v2, v4
.LBB2_28:
	s_or_b32 exec_lo, exec_lo, s10
.LBB2_29:
	s_delay_alu instid0(SALU_CYCLE_1)
	s_or_b32 exec_lo, exec_lo, s9
	v_cmp_lt_u32_e64 s8, 63, v0
	v_add_nc_u32_e32 v19, 0xffffff00, v11
	s_barrier
	buffer_gl0_inv
	ds_store_b32 v12, v2
	s_waitcnt lgkmcnt(0)
	s_barrier
	buffer_gl0_inv
	s_and_saveexec_b32 s10, s8
	s_cbranch_execz .LBB2_33
; %bb.30:
	ds_load_b32 v4, v19
	s_mov_b32 s11, exec_lo
	s_waitcnt lgkmcnt(0)
	v_cmpx_eq_u32_e64 v3, v4
	s_cbranch_execz .LBB2_32
; %bb.31:
	v_add_nc_u32_e32 v4, 0xffffff00, v12
	ds_load_b32 v4, v4
	s_waitcnt lgkmcnt(0)
	v_add_f32_e32 v2, v2, v4
.LBB2_32:
	s_or_b32 exec_lo, exec_lo, s11
.LBB2_33:
	s_delay_alu instid0(SALU_CYCLE_1)
	s_or_b32 exec_lo, exec_lo, s10
	s_load_b64 s[28:29], s[0:1], 0x30
	v_cmp_lt_u32_e64 s9, 0x7f, v0
	v_add_nc_u32_e32 v20, 0xfffffe00, v11
	s_waitcnt lgkmcnt(0)
	s_barrier
	buffer_gl0_inv
	ds_store_b32 v12, v2
	s_waitcnt lgkmcnt(0)
	s_barrier
	buffer_gl0_inv
	s_and_saveexec_b32 s11, s9
	s_cbranch_execz .LBB2_37
; %bb.34:
	ds_load_b32 v4, v20
	s_mov_b32 s12, exec_lo
	s_waitcnt lgkmcnt(0)
	v_cmpx_eq_u32_e64 v3, v4
	s_cbranch_execz .LBB2_36
; %bb.35:
	v_add_nc_u32_e32 v4, 0xfffffe00, v12
	ds_load_b32 v4, v4
	s_waitcnt lgkmcnt(0)
	v_add_f32_e32 v2, v2, v4
.LBB2_36:
	s_or_b32 exec_lo, exec_lo, s12
.LBB2_37:
	s_delay_alu instid0(SALU_CYCLE_1)
	s_or_b32 exec_lo, exec_lo, s11
	v_cmp_gt_u32_e64 s10, 0xff, v0
	s_barrier
	buffer_gl0_inv
	ds_store_b32 v12, v2
	s_waitcnt lgkmcnt(0)
	s_barrier
	buffer_gl0_inv
	s_and_saveexec_b32 s13, s10
	s_cbranch_execz .LBB2_40
; %bb.38:
	ds_load_b32 v4, v11 offset:4
	v_cmp_lt_i32_e64 s12, -1, v3
	s_waitcnt lgkmcnt(0)
	v_cmp_ne_u32_e64 s11, v3, v4
	s_delay_alu instid0(VALU_DEP_1) | instskip(NEXT) | instid1(SALU_CYCLE_1)
	s_and_b32 s11, s12, s11
	s_and_b32 exec_lo, exec_lo, s11
	s_cbranch_execz .LBB2_40
; %bb.39:
	v_mov_b32_e32 v4, 0
	s_delay_alu instid0(VALU_DEP_1) | instskip(NEXT) | instid1(VALU_DEP_1)
	v_lshlrev_b64 v[9:10], 2, v[3:4]
	v_add_co_u32 v9, s11, s28, v9
	s_delay_alu instid0(VALU_DEP_1)
	v_add_co_ci_u32_e64 v10, s11, s29, v10, s11
	global_load_b32 v4, v[9:10], off
	s_waitcnt vmcnt(0)
	v_fmac_f32_e32 v4, s20, v2
	global_store_b32 v[9:10], v4, off
.LBB2_40:
	s_or_b32 exec_lo, exec_lo, s13
	s_load_b128 s[12:15], s[0:1], 0x38
	s_cmp_lt_i32 s21, 2
	s_cbranch_scc1 .LBB2_87
; %bb.41:
	s_ashr_i32 s25, s24, 31
	v_add_nc_u32_e32 v21, -4, v12
	s_lshl_b64 s[0:1], s[24:25], 2
	v_add_nc_u32_e32 v22, -8, v12
	s_sub_u32 s11, s30, s0
	v_add_co_u32 v2, s0, v7, s18
	s_delay_alu instid0(VALU_DEP_1) | instskip(SKIP_1) | instid1(VALU_DEP_1)
	v_add_co_ci_u32_e64 v3, s0, s19, v8, s0
	v_add_co_u32 v4, s0, v5, s16
	v_add_co_ci_u32_e64 v8, s0, s17, v6, s0
	s_delay_alu instid0(VALU_DEP_4) | instskip(NEXT) | instid1(VALU_DEP_1)
	v_add_co_u32 v5, s0, 0x400, v2
	v_add_co_ci_u32_e64 v6, s0, 0, v3, s0
	s_delay_alu instid0(VALU_DEP_4)
	v_add_co_u32 v7, s0, 0x800, v4
	v_mov_b32_e32 v4, 0
	v_add_co_ci_u32_e64 v8, s0, 0, v8, s0
	v_add_co_u32 v9, s0, 0x100, v1
	v_add_nc_u32_e32 v23, -16, v12
	v_subrev_nc_u32_e32 v24, 32, v12
	v_subrev_nc_u32_e32 v25, 64, v12
	v_add_nc_u32_e32 v26, 0xffffff80, v12
	v_add_nc_u32_e32 v27, 0xffffff00, v12
	;; [unrolled: 1-line block ×3, first 2 shown]
	v_add_co_ci_u32_e64 v10, null, 0, 0, s0
	s_subb_u32 s18, s31, s1
	s_add_i32 s19, s21, -1
	s_mov_b32 s17, 0
	s_branch .LBB2_43
.LBB2_42:                               ;   in Loop: Header=BB2_43 Depth=1
	s_or_b32 exec_lo, exec_lo, s16
	v_add_co_u32 v5, s0, 0x400, v5
	s_delay_alu instid0(VALU_DEP_1) | instskip(SKIP_1) | instid1(VALU_DEP_1)
	v_add_co_ci_u32_e64 v6, s0, 0, v6, s0
	v_add_co_u32 v7, s0, 0x800, v7
	v_add_co_ci_u32_e64 v8, s0, 0, v8, s0
	v_add_co_u32 v9, s0, 0x100, v9
	s_delay_alu instid0(VALU_DEP_1) | instskip(SKIP_1) | instid1(SALU_CYCLE_1)
	v_add_co_ci_u32_e64 v10, s0, 0, v10, s0
	s_add_i32 s19, s19, -1
	s_cmp_eq_u32 s19, 0
	s_cbranch_scc1 .LBB2_87
.LBB2_43:                               ; =>This Inner Loop Header: Depth=1
	v_dual_mov_b32 v3, -1 :: v_dual_mov_b32 v2, 0
	s_mov_b32 s1, exec_lo
	v_cmpx_gt_i64_e64 s[26:27], v[9:10]
	s_cbranch_execz .LBB2_45
; %bb.44:                               ;   in Loop: Header=BB2_43 Depth=1
	global_load_b64 v[1:2], v[7:8], off slc dlc
	s_waitcnt vmcnt(0)
	v_ashrrev_i32_e32 v3, 31, v2
	s_delay_alu instid0(VALU_DEP_1) | instskip(NEXT) | instid1(VALU_DEP_1)
	v_lshlrev_b64 v[2:3], 2, v[2:3]
	v_add_co_u32 v2, s0, s11, v2
	s_delay_alu instid0(VALU_DEP_1)
	v_add_co_ci_u32_e64 v3, s0, s18, v3, s0
	global_load_b32 v29, v[5:6], off slc dlc
	global_load_b32 v2, v[2:3], off
	v_subrev_nc_u32_e32 v3, s24, v1
	s_waitcnt vmcnt(0)
	v_mul_f32_e32 v2, v29, v2
.LBB2_45:                               ;   in Loop: Header=BB2_43 Depth=1
	s_or_b32 exec_lo, exec_lo, s1
	s_and_saveexec_b32 s1, vcc_lo
	s_cbranch_execz .LBB2_52
; %bb.46:                               ;   in Loop: Header=BB2_43 Depth=1
	ds_load_b32 v1, v4 offset:1020
	s_waitcnt lgkmcnt(0)
	v_readfirstlane_b32 s16, v1
	v_cmp_ne_u32_e64 s0, v3, v1
	s_delay_alu instid0(VALU_DEP_1) | instskip(NEXT) | instid1(SALU_CYCLE_1)
	s_and_saveexec_b32 s21, s0
	s_xor_b32 s0, exec_lo, s21
	s_cbranch_execz .LBB2_49
; %bb.47:                               ;   in Loop: Header=BB2_43 Depth=1
	s_cmp_lt_i32 s16, 0
	s_cbranch_scc1 .LBB2_49
; %bb.48:                               ;   in Loop: Header=BB2_43 Depth=1
	s_lshl_b64 s[30:31], s[16:17], 2
	ds_load_b32 v29, v4 offset:2044
	s_add_u32 s30, s28, s30
	s_addc_u32 s31, s29, s31
	global_load_b32 v1, v4, s[30:31]
	s_waitcnt vmcnt(0) lgkmcnt(0)
	v_fmac_f32_e32 v1, s20, v29
	global_store_b32 v4, v1, s[30:31]
.LBB2_49:                               ;   in Loop: Header=BB2_43 Depth=1
	s_and_not1_saveexec_b32 s0, s0
	s_cbranch_execz .LBB2_51
; %bb.50:                               ;   in Loop: Header=BB2_43 Depth=1
	ds_load_b32 v1, v4 offset:2044
	s_waitcnt lgkmcnt(0)
	v_add_f32_e32 v2, v2, v1
.LBB2_51:                               ;   in Loop: Header=BB2_43 Depth=1
	s_or_b32 exec_lo, exec_lo, s0
.LBB2_52:                               ;   in Loop: Header=BB2_43 Depth=1
	s_delay_alu instid0(SALU_CYCLE_1)
	s_or_b32 exec_lo, exec_lo, s1
	s_waitcnt lgkmcnt(0)
	s_waitcnt_vscnt null, 0x0
	s_barrier
	buffer_gl0_inv
	ds_store_b32 v11, v3
	ds_store_b32 v12, v2
	s_waitcnt lgkmcnt(0)
	s_barrier
	buffer_gl0_inv
	s_and_saveexec_b32 s1, s2
	s_cbranch_execz .LBB2_56
; %bb.53:                               ;   in Loop: Header=BB2_43 Depth=1
	ds_load_b32 v1, v13
	s_mov_b32 s16, exec_lo
	s_waitcnt lgkmcnt(0)
	v_cmpx_eq_u32_e64 v3, v1
	s_cbranch_execz .LBB2_55
; %bb.54:                               ;   in Loop: Header=BB2_43 Depth=1
	ds_load_b32 v1, v21
	s_waitcnt lgkmcnt(0)
	v_add_f32_e32 v2, v2, v1
.LBB2_55:                               ;   in Loop: Header=BB2_43 Depth=1
	s_or_b32 exec_lo, exec_lo, s16
.LBB2_56:                               ;   in Loop: Header=BB2_43 Depth=1
	s_delay_alu instid0(SALU_CYCLE_1)
	s_or_b32 exec_lo, exec_lo, s1
	s_barrier
	buffer_gl0_inv
	ds_store_b32 v12, v2
	s_waitcnt lgkmcnt(0)
	s_barrier
	buffer_gl0_inv
	s_and_saveexec_b32 s1, s3
	s_cbranch_execz .LBB2_60
; %bb.57:                               ;   in Loop: Header=BB2_43 Depth=1
	ds_load_b32 v1, v14
	s_mov_b32 s16, exec_lo
	s_waitcnt lgkmcnt(0)
	v_cmpx_eq_u32_e64 v3, v1
	s_cbranch_execz .LBB2_59
; %bb.58:                               ;   in Loop: Header=BB2_43 Depth=1
	ds_load_b32 v1, v22
	s_waitcnt lgkmcnt(0)
	v_add_f32_e32 v2, v2, v1
.LBB2_59:                               ;   in Loop: Header=BB2_43 Depth=1
	s_or_b32 exec_lo, exec_lo, s16
.LBB2_60:                               ;   in Loop: Header=BB2_43 Depth=1
	s_delay_alu instid0(SALU_CYCLE_1)
	s_or_b32 exec_lo, exec_lo, s1
	s_barrier
	buffer_gl0_inv
	;; [unrolled: 23-line block ×8, first 2 shown]
	ds_store_b32 v12, v2
	s_waitcnt lgkmcnt(0)
	s_barrier
	buffer_gl0_inv
	s_and_saveexec_b32 s16, s10
	s_cbranch_execz .LBB2_42
; %bb.85:                               ;   in Loop: Header=BB2_43 Depth=1
	ds_load_b32 v1, v11 offset:4
	v_cmp_lt_i32_e64 s1, -1, v3
	s_waitcnt lgkmcnt(0)
	v_cmp_ne_u32_e64 s0, v3, v1
	s_delay_alu instid0(VALU_DEP_1) | instskip(NEXT) | instid1(SALU_CYCLE_1)
	s_and_b32 s0, s1, s0
	s_and_b32 exec_lo, exec_lo, s0
	s_cbranch_execz .LBB2_42
; %bb.86:                               ;   in Loop: Header=BB2_43 Depth=1
	v_lshlrev_b64 v[29:30], 2, v[3:4]
	s_delay_alu instid0(VALU_DEP_1) | instskip(NEXT) | instid1(VALU_DEP_1)
	v_add_co_u32 v29, s0, s28, v29
	v_add_co_ci_u32_e64 v30, s0, s29, v30, s0
	global_load_b32 v1, v[29:30], off
	s_waitcnt vmcnt(0)
	v_fmac_f32_e32 v1, s20, v2
	global_store_b32 v[29:30], v1, off
	s_branch .LBB2_42
.LBB2_87:
	s_mov_b32 s0, exec_lo
	v_cmpx_eq_u32_e32 0xff, v0
	s_cbranch_execz .LBB2_89
; %bb.88:
	s_mov_b32 s23, 0
	v_dual_mov_b32 v0, 0 :: v_dual_mul_f32 v1, s20, v2
	s_lshl_b64 s[0:1], s[22:23], 2
	s_waitcnt lgkmcnt(0)
	s_add_u32 s2, s12, s0
	s_addc_u32 s3, s13, s1
	s_add_u32 s0, s14, s0
	s_addc_u32 s1, s15, s1
	s_clause 0x1
	global_store_b32 v0, v3, s[2:3] glc slc dlc
	global_store_b32 v0, v1, s[0:1] glc slc dlc
.LBB2_89:
	s_nop 0
	s_sendmsg sendmsg(MSG_DEALLOC_VGPRS)
	s_endpgm
	.section	.rodata,"a",@progbits
	.p2align	6, 0x0
	.amdhsa_kernel _ZN9rocsparseL26coomvn_aos_segmented_loopsILj256EiffffEEvlT0_NS_24const_host_device_scalarIT4_EEPKS1_PKT1_PKT2_PT3_PS1_PS3_21rocsparse_index_base_b
		.amdhsa_group_segment_fixed_size 2048
		.amdhsa_private_segment_fixed_size 0
		.amdhsa_kernarg_size 80
		.amdhsa_user_sgpr_count 15
		.amdhsa_user_sgpr_dispatch_ptr 0
		.amdhsa_user_sgpr_queue_ptr 0
		.amdhsa_user_sgpr_kernarg_segment_ptr 1
		.amdhsa_user_sgpr_dispatch_id 0
		.amdhsa_user_sgpr_private_segment_size 0
		.amdhsa_wavefront_size32 1
		.amdhsa_uses_dynamic_stack 0
		.amdhsa_enable_private_segment 0
		.amdhsa_system_sgpr_workgroup_id_x 1
		.amdhsa_system_sgpr_workgroup_id_y 0
		.amdhsa_system_sgpr_workgroup_id_z 0
		.amdhsa_system_sgpr_workgroup_info 0
		.amdhsa_system_vgpr_workitem_id 0
		.amdhsa_next_free_vgpr 31
		.amdhsa_next_free_sgpr 32
		.amdhsa_reserve_vcc 1
		.amdhsa_float_round_mode_32 0
		.amdhsa_float_round_mode_16_64 0
		.amdhsa_float_denorm_mode_32 3
		.amdhsa_float_denorm_mode_16_64 3
		.amdhsa_dx10_clamp 1
		.amdhsa_ieee_mode 1
		.amdhsa_fp16_overflow 0
		.amdhsa_workgroup_processor_mode 1
		.amdhsa_memory_ordered 1
		.amdhsa_forward_progress 0
		.amdhsa_shared_vgpr_count 0
		.amdhsa_exception_fp_ieee_invalid_op 0
		.amdhsa_exception_fp_denorm_src 0
		.amdhsa_exception_fp_ieee_div_zero 0
		.amdhsa_exception_fp_ieee_overflow 0
		.amdhsa_exception_fp_ieee_underflow 0
		.amdhsa_exception_fp_ieee_inexact 0
		.amdhsa_exception_int_div_zero 0
	.end_amdhsa_kernel
	.section	.text._ZN9rocsparseL26coomvn_aos_segmented_loopsILj256EiffffEEvlT0_NS_24const_host_device_scalarIT4_EEPKS1_PKT1_PKT2_PT3_PS1_PS3_21rocsparse_index_base_b,"axG",@progbits,_ZN9rocsparseL26coomvn_aos_segmented_loopsILj256EiffffEEvlT0_NS_24const_host_device_scalarIT4_EEPKS1_PKT1_PKT2_PT3_PS1_PS3_21rocsparse_index_base_b,comdat
.Lfunc_end2:
	.size	_ZN9rocsparseL26coomvn_aos_segmented_loopsILj256EiffffEEvlT0_NS_24const_host_device_scalarIT4_EEPKS1_PKT1_PKT2_PT3_PS1_PS3_21rocsparse_index_base_b, .Lfunc_end2-_ZN9rocsparseL26coomvn_aos_segmented_loopsILj256EiffffEEvlT0_NS_24const_host_device_scalarIT4_EEPKS1_PKT1_PKT2_PT3_PS1_PS3_21rocsparse_index_base_b
                                        ; -- End function
	.section	.AMDGPU.csdata,"",@progbits
; Kernel info:
; codeLenInByte = 3012
; NumSgprs: 34
; NumVgprs: 31
; ScratchSize: 0
; MemoryBound: 0
; FloatMode: 240
; IeeeMode: 1
; LDSByteSize: 2048 bytes/workgroup (compile time only)
; SGPRBlocks: 4
; VGPRBlocks: 3
; NumSGPRsForWavesPerEU: 34
; NumVGPRsForWavesPerEU: 31
; Occupancy: 16
; WaveLimiterHint : 1
; COMPUTE_PGM_RSRC2:SCRATCH_EN: 0
; COMPUTE_PGM_RSRC2:USER_SGPR: 15
; COMPUTE_PGM_RSRC2:TRAP_HANDLER: 0
; COMPUTE_PGM_RSRC2:TGID_X_EN: 1
; COMPUTE_PGM_RSRC2:TGID_Y_EN: 0
; COMPUTE_PGM_RSRC2:TGID_Z_EN: 0
; COMPUTE_PGM_RSRC2:TIDIG_COMP_CNT: 0
	.section	.text._ZN9rocsparseL29coomvn_segmented_loops_reduceILj256EiffEEvT0_NS_24const_host_device_scalarIT2_EEPKS1_PKS3_PT1_b,"axG",@progbits,_ZN9rocsparseL29coomvn_segmented_loops_reduceILj256EiffEEvT0_NS_24const_host_device_scalarIT2_EEPKS1_PKS3_PT1_b,comdat
	.globl	_ZN9rocsparseL29coomvn_segmented_loops_reduceILj256EiffEEvT0_NS_24const_host_device_scalarIT2_EEPKS1_PKS3_PT1_b ; -- Begin function _ZN9rocsparseL29coomvn_segmented_loops_reduceILj256EiffEEvT0_NS_24const_host_device_scalarIT2_EEPKS1_PKS3_PT1_b
	.p2align	8
	.type	_ZN9rocsparseL29coomvn_segmented_loops_reduceILj256EiffEEvT0_NS_24const_host_device_scalarIT2_EEPKS1_PKS3_PT1_b,@function
_ZN9rocsparseL29coomvn_segmented_loops_reduceILj256EiffEEvT0_NS_24const_host_device_scalarIT2_EEPKS1_PKS3_PT1_b: ; @_ZN9rocsparseL29coomvn_segmented_loops_reduceILj256EiffEEvT0_NS_24const_host_device_scalarIT2_EEPKS1_PKS3_PT1_b
; %bb.0:
	s_clause 0x1
	s_load_b32 s4, s[0:1], 0x28
	s_load_b64 s[2:3], s[0:1], 0x8
	s_waitcnt lgkmcnt(0)
	s_bitcmp1_b32 s4, 0
	s_cselect_b32 s4, -1, 0
	s_delay_alu instid0(SALU_CYCLE_1)
	s_and_b32 vcc_lo, exec_lo, s4
	s_cbranch_vccnz .LBB3_2
; %bb.1:
	s_load_b32 s2, s[2:3], 0x0
.LBB3_2:
	s_waitcnt lgkmcnt(0)
	v_cmp_eq_f32_e64 s2, s2, 0
	s_delay_alu instid0(VALU_DEP_1)
	s_and_b32 vcc_lo, exec_lo, s2
	s_cbranch_vccnz .LBB3_44
; %bb.3:
	s_load_b32 s16, s[0:1], 0x0
	s_waitcnt lgkmcnt(0)
	s_cmp_lt_i32 s16, 1
	s_cbranch_scc1 .LBB3_44
; %bb.4:
	s_clause 0x1
	s_load_b128 s[12:15], s[0:1], 0x10
	s_load_b64 s[10:11], s[0:1], 0x20
	v_dual_mov_b32 v2, 0 :: v_dual_lshlrev_b32 v5, 2, v0
	v_cmp_ne_u32_e32 vcc_lo, 0, v0
	v_cmp_lt_u32_e64 s0, 1, v0
	v_cmp_lt_u32_e64 s1, 3, v0
	s_delay_alu instid0(VALU_DEP_4)
	v_or_b32_e32 v6, 0x400, v5
	v_add_nc_u32_e32 v7, -4, v5
	v_add_nc_u32_e32 v8, 0x3fc, v5
	v_add_nc_u32_e32 v9, -8, v5
	v_add_nc_u32_e32 v10, 0x3f8, v5
	;; [unrolled: 2-line block ×3, first 2 shown]
	v_cmp_lt_u32_e64 s2, 7, v0
	v_subrev_nc_u32_e32 v13, 32, v5
	v_add_nc_u32_e32 v14, 0x3e0, v5
	v_cmp_lt_u32_e64 s3, 15, v0
	v_subrev_nc_u32_e32 v15, 64, v5
	v_add_nc_u32_e32 v16, 0x3c0, v5
	v_cmp_lt_u32_e64 s4, 31, v0
	v_add_nc_u32_e32 v17, 0xffffff80, v5
	v_add_nc_u32_e32 v18, 0x380, v5
	v_cmp_lt_u32_e64 s5, 63, v0
	v_add_nc_u32_e32 v19, 0xffffff00, v5
	;; [unrolled: 3-line block ×3, first 2 shown]
	v_add_nc_u32_e32 v22, 0x200, v5
	v_cmp_gt_u32_e64 s7, 0xff, v0
	s_mov_b32 s17, 0
	s_branch .LBB3_6
.LBB3_5:                                ;   in Loop: Header=BB3_6 Depth=1
	s_or_b32 exec_lo, exec_lo, s9
	s_addk_i32 s17, 0x100
	s_waitcnt_vscnt null, 0x0
	s_cmp_lt_i32 s17, s16
	s_barrier
	buffer_gl0_inv
	s_cbranch_scc0 .LBB3_44
.LBB3_6:                                ; =>This Inner Loop Header: Depth=1
	v_dual_mov_b32 v4, -1 :: v_dual_add_nc_u32 v3, s17, v0
	v_mov_b32_e32 v23, 0
	s_mov_b32 s9, exec_lo
	s_delay_alu instid0(VALU_DEP_2)
	v_cmpx_gt_i32_e64 s16, v3
	s_cbranch_execz .LBB3_8
; %bb.7:                                ;   in Loop: Header=BB3_6 Depth=1
	v_ashrrev_i32_e32 v4, 31, v3
	s_delay_alu instid0(VALU_DEP_1) | instskip(SKIP_1) | instid1(VALU_DEP_1)
	v_lshlrev_b64 v[3:4], 2, v[3:4]
	s_waitcnt lgkmcnt(0)
	v_add_co_u32 v23, s8, s12, v3
	s_delay_alu instid0(VALU_DEP_1) | instskip(SKIP_1) | instid1(VALU_DEP_1)
	v_add_co_ci_u32_e64 v24, s8, s13, v4, s8
	v_add_co_u32 v25, s8, s14, v3
	v_add_co_ci_u32_e64 v26, s8, s15, v4, s8
	global_load_b32 v4, v[23:24], off
	global_load_b32 v23, v[25:26], off
.LBB3_8:                                ;   in Loop: Header=BB3_6 Depth=1
	s_or_b32 exec_lo, exec_lo, s9
	v_mov_b32_e32 v1, 0
	v_mov_b32_e32 v3, 0
	s_waitcnt vmcnt(1)
	ds_store_b32 v5, v4
	s_waitcnt vmcnt(0)
	ds_store_b32 v6, v23
	s_waitcnt lgkmcnt(0)
	s_barrier
	buffer_gl0_inv
	s_and_saveexec_b32 s9, vcc_lo
	s_cbranch_execz .LBB3_12
; %bb.9:                                ;   in Loop: Header=BB3_6 Depth=1
	ds_load_2addr_b32 v[3:4], v7 offset1:1
	s_waitcnt lgkmcnt(0)
	v_cmp_eq_u32_e64 s8, v4, v3
	v_mov_b32_e32 v3, 0
	s_delay_alu instid0(VALU_DEP_2)
	s_and_saveexec_b32 s18, s8
	s_cbranch_execz .LBB3_11
; %bb.10:                               ;   in Loop: Header=BB3_6 Depth=1
	ds_load_b32 v3, v8
.LBB3_11:                               ;   in Loop: Header=BB3_6 Depth=1
	s_or_b32 exec_lo, exec_lo, s18
.LBB3_12:                               ;   in Loop: Header=BB3_6 Depth=1
	s_delay_alu instid0(SALU_CYCLE_1)
	s_or_b32 exec_lo, exec_lo, s9
	s_waitcnt lgkmcnt(0)
	s_barrier
	buffer_gl0_inv
	ds_load_b32 v4, v6
	s_waitcnt lgkmcnt(0)
	v_add_f32_e32 v3, v3, v4
	ds_store_b32 v6, v3
	s_waitcnt lgkmcnt(0)
	s_barrier
	buffer_gl0_inv
	s_and_saveexec_b32 s9, s0
	s_cbranch_execz .LBB3_16
; %bb.13:                               ;   in Loop: Header=BB3_6 Depth=1
	ds_load_b32 v1, v5
	ds_load_b32 v3, v9
	s_waitcnt lgkmcnt(0)
	v_cmp_eq_u32_e64 s8, v1, v3
	v_mov_b32_e32 v1, 0
	s_delay_alu instid0(VALU_DEP_2)
	s_and_saveexec_b32 s18, s8
	s_cbranch_execz .LBB3_15
; %bb.14:                               ;   in Loop: Header=BB3_6 Depth=1
	ds_load_b32 v1, v10
.LBB3_15:                               ;   in Loop: Header=BB3_6 Depth=1
	s_or_b32 exec_lo, exec_lo, s18
.LBB3_16:                               ;   in Loop: Header=BB3_6 Depth=1
	s_delay_alu instid0(SALU_CYCLE_1)
	s_or_b32 exec_lo, exec_lo, s9
	s_waitcnt lgkmcnt(0)
	s_barrier
	buffer_gl0_inv
	ds_load_b32 v3, v6
	s_waitcnt lgkmcnt(0)
	v_dual_add_f32 v4, v1, v3 :: v_dual_mov_b32 v1, 0
	v_mov_b32_e32 v3, 0
	ds_store_b32 v6, v4
	s_waitcnt lgkmcnt(0)
	s_barrier
	buffer_gl0_inv
	s_and_saveexec_b32 s9, s1
	s_cbranch_execz .LBB3_20
; %bb.17:                               ;   in Loop: Header=BB3_6 Depth=1
	ds_load_b32 v3, v5
	ds_load_b32 v4, v11
	s_waitcnt lgkmcnt(0)
	v_cmp_eq_u32_e64 s8, v3, v4
	v_mov_b32_e32 v3, 0
	s_delay_alu instid0(VALU_DEP_2)
	s_and_saveexec_b32 s18, s8
	s_cbranch_execz .LBB3_19
; %bb.18:                               ;   in Loop: Header=BB3_6 Depth=1
	ds_load_b32 v3, v12
.LBB3_19:                               ;   in Loop: Header=BB3_6 Depth=1
	s_or_b32 exec_lo, exec_lo, s18
.LBB3_20:                               ;   in Loop: Header=BB3_6 Depth=1
	s_delay_alu instid0(SALU_CYCLE_1)
	s_or_b32 exec_lo, exec_lo, s9
	s_waitcnt lgkmcnt(0)
	s_barrier
	buffer_gl0_inv
	ds_load_b32 v4, v6
	s_waitcnt lgkmcnt(0)
	v_add_f32_e32 v3, v3, v4
	ds_store_b32 v6, v3
	s_waitcnt lgkmcnt(0)
	s_barrier
	buffer_gl0_inv
	s_and_saveexec_b32 s9, s2
	s_cbranch_execz .LBB3_24
; %bb.21:                               ;   in Loop: Header=BB3_6 Depth=1
	ds_load_b32 v1, v5
	ds_load_b32 v3, v13
	s_waitcnt lgkmcnt(0)
	v_cmp_eq_u32_e64 s8, v1, v3
	v_mov_b32_e32 v1, 0
	s_delay_alu instid0(VALU_DEP_2)
	s_and_saveexec_b32 s18, s8
	s_cbranch_execz .LBB3_23
; %bb.22:                               ;   in Loop: Header=BB3_6 Depth=1
	ds_load_b32 v1, v14
.LBB3_23:                               ;   in Loop: Header=BB3_6 Depth=1
	s_or_b32 exec_lo, exec_lo, s18
.LBB3_24:                               ;   in Loop: Header=BB3_6 Depth=1
	s_delay_alu instid0(SALU_CYCLE_1)
	s_or_b32 exec_lo, exec_lo, s9
	s_waitcnt lgkmcnt(0)
	s_barrier
	buffer_gl0_inv
	ds_load_b32 v3, v6
	s_waitcnt lgkmcnt(0)
	v_dual_add_f32 v4, v1, v3 :: v_dual_mov_b32 v1, 0
	v_mov_b32_e32 v3, 0
	ds_store_b32 v6, v4
	s_waitcnt lgkmcnt(0)
	s_barrier
	buffer_gl0_inv
	s_and_saveexec_b32 s9, s3
	s_cbranch_execz .LBB3_28
; %bb.25:                               ;   in Loop: Header=BB3_6 Depth=1
	ds_load_b32 v3, v5
	ds_load_b32 v4, v15
	s_waitcnt lgkmcnt(0)
	v_cmp_eq_u32_e64 s8, v3, v4
	v_mov_b32_e32 v3, 0
	s_delay_alu instid0(VALU_DEP_2)
	s_and_saveexec_b32 s18, s8
	s_cbranch_execz .LBB3_27
; %bb.26:                               ;   in Loop: Header=BB3_6 Depth=1
	ds_load_b32 v3, v16
.LBB3_27:                               ;   in Loop: Header=BB3_6 Depth=1
	s_or_b32 exec_lo, exec_lo, s18
.LBB3_28:                               ;   in Loop: Header=BB3_6 Depth=1
	;; [unrolled: 57-line block ×3, first 2 shown]
	s_delay_alu instid0(SALU_CYCLE_1)
	s_or_b32 exec_lo, exec_lo, s9
	s_waitcnt lgkmcnt(0)
	s_barrier
	buffer_gl0_inv
	ds_load_b32 v4, v6
	s_waitcnt lgkmcnt(0)
	v_add_f32_e32 v3, v3, v4
	ds_store_b32 v6, v3
	s_waitcnt lgkmcnt(0)
	s_barrier
	buffer_gl0_inv
	s_and_saveexec_b32 s9, s6
	s_cbranch_execz .LBB3_40
; %bb.37:                               ;   in Loop: Header=BB3_6 Depth=1
	ds_load_b32 v1, v5
	ds_load_b32 v3, v21
	s_waitcnt lgkmcnt(0)
	v_cmp_eq_u32_e64 s8, v1, v3
	v_mov_b32_e32 v1, 0
	s_delay_alu instid0(VALU_DEP_2)
	s_and_saveexec_b32 s18, s8
	s_cbranch_execz .LBB3_39
; %bb.38:                               ;   in Loop: Header=BB3_6 Depth=1
	ds_load_b32 v1, v22
.LBB3_39:                               ;   in Loop: Header=BB3_6 Depth=1
	s_or_b32 exec_lo, exec_lo, s18
.LBB3_40:                               ;   in Loop: Header=BB3_6 Depth=1
	s_delay_alu instid0(SALU_CYCLE_1)
	s_or_b32 exec_lo, exec_lo, s9
	s_waitcnt lgkmcnt(0)
	s_barrier
	buffer_gl0_inv
	ds_load_b32 v3, v6
	s_waitcnt lgkmcnt(0)
	v_add_f32_e32 v1, v1, v3
	v_mov_b32_e32 v3, -1
	ds_store_b32 v6, v1
	s_waitcnt lgkmcnt(0)
	s_barrier
	buffer_gl0_inv
	ds_load_b32 v1, v5
	s_and_saveexec_b32 s8, s7
	s_cbranch_execz .LBB3_42
; %bb.41:                               ;   in Loop: Header=BB3_6 Depth=1
	ds_load_b32 v3, v5 offset:4
.LBB3_42:                               ;   in Loop: Header=BB3_6 Depth=1
	s_or_b32 exec_lo, exec_lo, s8
	s_waitcnt lgkmcnt(0)
	v_cmp_ne_u32_e64 s8, v1, v3
	v_cmp_lt_i32_e64 s9, -1, v1
	s_delay_alu instid0(VALU_DEP_1) | instskip(NEXT) | instid1(SALU_CYCLE_1)
	s_and_b32 s8, s9, s8
	s_and_saveexec_b32 s9, s8
	s_cbranch_execz .LBB3_5
; %bb.43:                               ;   in Loop: Header=BB3_6 Depth=1
	v_lshlrev_b64 v[3:4], 2, v[1:2]
	ds_load_b32 v23, v6
	v_add_co_u32 v3, s8, s10, v3
	s_delay_alu instid0(VALU_DEP_1)
	v_add_co_ci_u32_e64 v4, s8, s11, v4, s8
	global_load_b32 v1, v[3:4], off
	s_waitcnt vmcnt(0) lgkmcnt(0)
	v_add_f32_e32 v1, v1, v23
	global_store_b32 v[3:4], v1, off
	s_branch .LBB3_5
.LBB3_44:
	s_endpgm
	.section	.rodata,"a",@progbits
	.p2align	6, 0x0
	.amdhsa_kernel _ZN9rocsparseL29coomvn_segmented_loops_reduceILj256EiffEEvT0_NS_24const_host_device_scalarIT2_EEPKS1_PKS3_PT1_b
		.amdhsa_group_segment_fixed_size 2048
		.amdhsa_private_segment_fixed_size 0
		.amdhsa_kernarg_size 44
		.amdhsa_user_sgpr_count 15
		.amdhsa_user_sgpr_dispatch_ptr 0
		.amdhsa_user_sgpr_queue_ptr 0
		.amdhsa_user_sgpr_kernarg_segment_ptr 1
		.amdhsa_user_sgpr_dispatch_id 0
		.amdhsa_user_sgpr_private_segment_size 0
		.amdhsa_wavefront_size32 1
		.amdhsa_uses_dynamic_stack 0
		.amdhsa_enable_private_segment 0
		.amdhsa_system_sgpr_workgroup_id_x 1
		.amdhsa_system_sgpr_workgroup_id_y 0
		.amdhsa_system_sgpr_workgroup_id_z 0
		.amdhsa_system_sgpr_workgroup_info 0
		.amdhsa_system_vgpr_workitem_id 0
		.amdhsa_next_free_vgpr 27
		.amdhsa_next_free_sgpr 19
		.amdhsa_reserve_vcc 1
		.amdhsa_float_round_mode_32 0
		.amdhsa_float_round_mode_16_64 0
		.amdhsa_float_denorm_mode_32 3
		.amdhsa_float_denorm_mode_16_64 3
		.amdhsa_dx10_clamp 1
		.amdhsa_ieee_mode 1
		.amdhsa_fp16_overflow 0
		.amdhsa_workgroup_processor_mode 1
		.amdhsa_memory_ordered 1
		.amdhsa_forward_progress 0
		.amdhsa_shared_vgpr_count 0
		.amdhsa_exception_fp_ieee_invalid_op 0
		.amdhsa_exception_fp_denorm_src 0
		.amdhsa_exception_fp_ieee_div_zero 0
		.amdhsa_exception_fp_ieee_overflow 0
		.amdhsa_exception_fp_ieee_underflow 0
		.amdhsa_exception_fp_ieee_inexact 0
		.amdhsa_exception_int_div_zero 0
	.end_amdhsa_kernel
	.section	.text._ZN9rocsparseL29coomvn_segmented_loops_reduceILj256EiffEEvT0_NS_24const_host_device_scalarIT2_EEPKS1_PKS3_PT1_b,"axG",@progbits,_ZN9rocsparseL29coomvn_segmented_loops_reduceILj256EiffEEvT0_NS_24const_host_device_scalarIT2_EEPKS1_PKS3_PT1_b,comdat
.Lfunc_end3:
	.size	_ZN9rocsparseL29coomvn_segmented_loops_reduceILj256EiffEEvT0_NS_24const_host_device_scalarIT2_EEPKS1_PKS3_PT1_b, .Lfunc_end3-_ZN9rocsparseL29coomvn_segmented_loops_reduceILj256EiffEEvT0_NS_24const_host_device_scalarIT2_EEPKS1_PKS3_PT1_b
                                        ; -- End function
	.section	.AMDGPU.csdata,"",@progbits
; Kernel info:
; codeLenInByte = 1692
; NumSgprs: 21
; NumVgprs: 27
; ScratchSize: 0
; MemoryBound: 0
; FloatMode: 240
; IeeeMode: 1
; LDSByteSize: 2048 bytes/workgroup (compile time only)
; SGPRBlocks: 2
; VGPRBlocks: 3
; NumSGPRsForWavesPerEU: 21
; NumVGPRsForWavesPerEU: 27
; Occupancy: 16
; WaveLimiterHint : 0
; COMPUTE_PGM_RSRC2:SCRATCH_EN: 0
; COMPUTE_PGM_RSRC2:USER_SGPR: 15
; COMPUTE_PGM_RSRC2:TRAP_HANDLER: 0
; COMPUTE_PGM_RSRC2:TGID_X_EN: 1
; COMPUTE_PGM_RSRC2:TGID_Y_EN: 0
; COMPUTE_PGM_RSRC2:TGID_Z_EN: 0
; COMPUTE_PGM_RSRC2:TIDIG_COMP_CNT: 0
	.section	.text._ZN9rocsparseL23coomvn_aos_atomic_loopsILj256ELj1ElffffEEvlNS_24const_host_device_scalarIT5_EEPKT1_PKT2_PKT3_PT4_21rocsparse_index_base_b,"axG",@progbits,_ZN9rocsparseL23coomvn_aos_atomic_loopsILj256ELj1ElffffEEvlNS_24const_host_device_scalarIT5_EEPKT1_PKT2_PKT3_PT4_21rocsparse_index_base_b,comdat
	.globl	_ZN9rocsparseL23coomvn_aos_atomic_loopsILj256ELj1ElffffEEvlNS_24const_host_device_scalarIT5_EEPKT1_PKT2_PKT3_PT4_21rocsparse_index_base_b ; -- Begin function _ZN9rocsparseL23coomvn_aos_atomic_loopsILj256ELj1ElffffEEvlNS_24const_host_device_scalarIT5_EEPKT1_PKT2_PKT3_PT4_21rocsparse_index_base_b
	.p2align	8
	.type	_ZN9rocsparseL23coomvn_aos_atomic_loopsILj256ELj1ElffffEEvlNS_24const_host_device_scalarIT5_EEPKT1_PKT2_PKT3_PT4_21rocsparse_index_base_b,@function
_ZN9rocsparseL23coomvn_aos_atomic_loopsILj256ELj1ElffffEEvlNS_24const_host_device_scalarIT5_EEPKT1_PKT2_PKT3_PT4_21rocsparse_index_base_b: ; @_ZN9rocsparseL23coomvn_aos_atomic_loopsILj256ELj1ElffffEEvlNS_24const_host_device_scalarIT5_EEPKT1_PKT2_PKT3_PT4_21rocsparse_index_base_b
; %bb.0:
	s_clause 0x1
	s_load_b64 s[2:3], s[0:1], 0x30
	s_load_b128 s[4:7], s[0:1], 0x0
	s_waitcnt lgkmcnt(0)
	s_bitcmp1_b32 s3, 0
	s_cselect_b32 s3, -1, 0
	s_delay_alu instid0(SALU_CYCLE_1)
	s_and_b32 vcc_lo, exec_lo, s3
	s_cbranch_vccnz .LBB4_2
; %bb.1:
	s_load_b32 s6, s[6:7], 0x0
.LBB4_2:
	s_waitcnt lgkmcnt(0)
	v_cmp_eq_f32_e64 s3, s6, 0
	s_delay_alu instid0(VALU_DEP_1)
	s_and_b32 vcc_lo, exec_lo, s3
	s_cbranch_vccnz .LBB4_44
; %bb.3:
	v_dual_mov_b32 v2, 0 :: v_dual_mov_b32 v3, -1
	v_lshl_or_b32 v1, s15, 8, v0
	v_mov_b32_e32 v4, -1
	s_mov_b32 s3, exec_lo
	s_delay_alu instid0(VALU_DEP_2)
	v_cmpx_gt_i64_e64 s[4:5], v[1:2]
	s_cbranch_execz .LBB4_5
; %bb.4:
	s_clause 0x1
	s_load_b128 s[8:11], s[0:1], 0x10
	s_load_b64 s[4:5], s[0:1], 0x20
	v_lshlrev_b64 v[3:4], 4, v[1:2]
	v_lshlrev_b64 v[1:2], 2, v[1:2]
	s_waitcnt lgkmcnt(0)
	s_delay_alu instid0(VALU_DEP_2) | instskip(NEXT) | instid1(VALU_DEP_3)
	v_add_co_u32 v3, vcc_lo, s8, v3
	v_add_co_ci_u32_e32 v4, vcc_lo, s9, v4, vcc_lo
	global_load_b128 v[3:6], v[3:4], off slc dlc
	s_waitcnt vmcnt(0)
	v_sub_co_u32 v5, vcc_lo, v5, s2
	v_subrev_co_ci_u32_e32 v6, vcc_lo, 0, v6, vcc_lo
	v_add_co_u32 v1, vcc_lo, s10, v1
	v_add_co_ci_u32_e32 v2, vcc_lo, s11, v2, vcc_lo
	s_delay_alu instid0(VALU_DEP_3) | instskip(NEXT) | instid1(VALU_DEP_1)
	v_lshlrev_b64 v[5:6], 2, v[5:6]
	v_add_co_u32 v5, vcc_lo, s4, v5
	s_delay_alu instid0(VALU_DEP_2)
	v_add_co_ci_u32_e32 v6, vcc_lo, s5, v6, vcc_lo
	v_sub_co_u32 v3, vcc_lo, v3, s2
	global_load_b32 v1, v[1:2], off slc dlc
	global_load_b32 v2, v[5:6], off
	v_subrev_co_ci_u32_e32 v4, vcc_lo, 0, v4, vcc_lo
	s_waitcnt vmcnt(0)
	v_mul_f32_e32 v2, v1, v2
.LBB4_5:
	s_or_b32 exec_lo, exec_lo, s3
	v_lshlrev_b32_e32 v6, 2, v0
	v_lshlrev_b32_e32 v1, 3, v0
	s_mov_b32 s2, exec_lo
	ds_store_b64 v1, v[3:4]
	ds_store_b32 v6, v2 offset:2048
	v_or_b32_e32 v5, 0x800, v6
	s_waitcnt lgkmcnt(0)
	s_barrier
	buffer_gl0_inv
	v_cmpx_ne_u32_e32 0, v0
	s_cbranch_execz .LBB4_9
; %bb.6:
	v_add_nc_u32_e32 v6, -8, v1
	s_mov_b32 s3, exec_lo
	ds_load_b64 v[6:7], v6
	s_waitcnt lgkmcnt(0)
	v_cmpx_eq_u64_e64 v[3:4], v[6:7]
	s_cbranch_execz .LBB4_8
; %bb.7:
	v_add_nc_u32_e32 v6, -4, v5
	ds_load_b32 v6, v6
	s_waitcnt lgkmcnt(0)
	v_add_f32_e32 v2, v2, v6
.LBB4_8:
	s_or_b32 exec_lo, exec_lo, s3
.LBB4_9:
	s_delay_alu instid0(SALU_CYCLE_1) | instskip(NEXT) | instid1(SALU_CYCLE_1)
	s_or_b32 exec_lo, exec_lo, s2
	s_mov_b32 s2, exec_lo
	s_barrier
	buffer_gl0_inv
	ds_store_b32 v5, v2
	s_waitcnt lgkmcnt(0)
	s_barrier
	buffer_gl0_inv
	v_cmpx_lt_u32_e32 1, v0
	s_cbranch_execz .LBB4_13
; %bb.10:
	v_add_nc_u32_e32 v6, -16, v1
	s_mov_b32 s3, exec_lo
	ds_load_b64 v[6:7], v6
	s_waitcnt lgkmcnt(0)
	v_cmpx_eq_u64_e64 v[3:4], v[6:7]
	s_cbranch_execz .LBB4_12
; %bb.11:
	v_add_nc_u32_e32 v6, -8, v5
	ds_load_b32 v6, v6
	s_waitcnt lgkmcnt(0)
	v_add_f32_e32 v2, v2, v6
.LBB4_12:
	s_or_b32 exec_lo, exec_lo, s3
.LBB4_13:
	s_delay_alu instid0(SALU_CYCLE_1) | instskip(NEXT) | instid1(SALU_CYCLE_1)
	s_or_b32 exec_lo, exec_lo, s2
	s_mov_b32 s2, exec_lo
	s_barrier
	buffer_gl0_inv
	ds_store_b32 v5, v2
	s_waitcnt lgkmcnt(0)
	s_barrier
	buffer_gl0_inv
	v_cmpx_lt_u32_e32 3, v0
	s_cbranch_execz .LBB4_17
; %bb.14:
	v_subrev_nc_u32_e32 v6, 32, v1
	s_mov_b32 s3, exec_lo
	ds_load_b64 v[6:7], v6
	s_waitcnt lgkmcnt(0)
	v_cmpx_eq_u64_e64 v[3:4], v[6:7]
	s_cbranch_execz .LBB4_16
; %bb.15:
	v_add_nc_u32_e32 v6, -16, v5
	ds_load_b32 v6, v6
	s_waitcnt lgkmcnt(0)
	v_add_f32_e32 v2, v2, v6
.LBB4_16:
	s_or_b32 exec_lo, exec_lo, s3
.LBB4_17:
	s_delay_alu instid0(SALU_CYCLE_1) | instskip(NEXT) | instid1(SALU_CYCLE_1)
	s_or_b32 exec_lo, exec_lo, s2
	s_mov_b32 s2, exec_lo
	s_barrier
	buffer_gl0_inv
	ds_store_b32 v5, v2
	s_waitcnt lgkmcnt(0)
	s_barrier
	buffer_gl0_inv
	v_cmpx_lt_u32_e32 7, v0
	s_cbranch_execz .LBB4_21
; %bb.18:
	v_subrev_nc_u32_e32 v6, 64, v1
	s_mov_b32 s3, exec_lo
	ds_load_b64 v[6:7], v6
	s_waitcnt lgkmcnt(0)
	v_cmpx_eq_u64_e64 v[3:4], v[6:7]
	s_cbranch_execz .LBB4_20
; %bb.19:
	v_subrev_nc_u32_e32 v6, 32, v5
	ds_load_b32 v6, v6
	s_waitcnt lgkmcnt(0)
	v_add_f32_e32 v2, v2, v6
.LBB4_20:
	s_or_b32 exec_lo, exec_lo, s3
.LBB4_21:
	s_delay_alu instid0(SALU_CYCLE_1) | instskip(NEXT) | instid1(SALU_CYCLE_1)
	s_or_b32 exec_lo, exec_lo, s2
	s_mov_b32 s2, exec_lo
	s_barrier
	buffer_gl0_inv
	ds_store_b32 v5, v2
	s_waitcnt lgkmcnt(0)
	s_barrier
	buffer_gl0_inv
	v_cmpx_lt_u32_e32 15, v0
	s_cbranch_execz .LBB4_25
; %bb.22:
	v_add_nc_u32_e32 v6, 0xffffff80, v1
	s_mov_b32 s3, exec_lo
	ds_load_b64 v[6:7], v6
	s_waitcnt lgkmcnt(0)
	v_cmpx_eq_u64_e64 v[3:4], v[6:7]
	s_cbranch_execz .LBB4_24
; %bb.23:
	v_subrev_nc_u32_e32 v6, 64, v5
	ds_load_b32 v6, v6
	s_waitcnt lgkmcnt(0)
	v_add_f32_e32 v2, v2, v6
.LBB4_24:
	s_or_b32 exec_lo, exec_lo, s3
.LBB4_25:
	s_delay_alu instid0(SALU_CYCLE_1) | instskip(NEXT) | instid1(SALU_CYCLE_1)
	s_or_b32 exec_lo, exec_lo, s2
	s_mov_b32 s2, exec_lo
	s_barrier
	buffer_gl0_inv
	ds_store_b32 v5, v2
	s_waitcnt lgkmcnt(0)
	s_barrier
	buffer_gl0_inv
	v_cmpx_lt_u32_e32 31, v0
	s_cbranch_execz .LBB4_29
; %bb.26:
	v_add_nc_u32_e32 v6, 0xffffff00, v1
	s_mov_b32 s3, exec_lo
	ds_load_b64 v[6:7], v6
	s_waitcnt lgkmcnt(0)
	v_cmpx_eq_u64_e64 v[3:4], v[6:7]
	s_cbranch_execz .LBB4_28
; %bb.27:
	v_add_nc_u32_e32 v6, 0xffffff80, v5
	ds_load_b32 v6, v6
	s_waitcnt lgkmcnt(0)
	v_add_f32_e32 v2, v2, v6
.LBB4_28:
	s_or_b32 exec_lo, exec_lo, s3
.LBB4_29:
	s_delay_alu instid0(SALU_CYCLE_1) | instskip(NEXT) | instid1(SALU_CYCLE_1)
	s_or_b32 exec_lo, exec_lo, s2
	s_mov_b32 s2, exec_lo
	s_barrier
	buffer_gl0_inv
	ds_store_b32 v5, v2
	s_waitcnt lgkmcnt(0)
	s_barrier
	buffer_gl0_inv
	v_cmpx_lt_u32_e32 63, v0
	s_cbranch_execz .LBB4_33
; %bb.30:
	v_add_nc_u32_e32 v6, 0xfffffe00, v1
	s_mov_b32 s3, exec_lo
	ds_load_b64 v[6:7], v6
	s_waitcnt lgkmcnt(0)
	v_cmpx_eq_u64_e64 v[3:4], v[6:7]
	s_cbranch_execz .LBB4_32
; %bb.31:
	v_add_nc_u32_e32 v6, 0xffffff00, v5
	ds_load_b32 v6, v6
	s_waitcnt lgkmcnt(0)
	v_add_f32_e32 v2, v2, v6
.LBB4_32:
	s_or_b32 exec_lo, exec_lo, s3
.LBB4_33:
	s_delay_alu instid0(SALU_CYCLE_1)
	s_or_b32 exec_lo, exec_lo, s2
	s_load_b64 s[2:3], s[0:1], 0x28
	s_mov_b32 s0, exec_lo
	s_waitcnt lgkmcnt(0)
	s_barrier
	buffer_gl0_inv
	ds_store_b32 v5, v2
	s_waitcnt lgkmcnt(0)
	s_barrier
	buffer_gl0_inv
	v_cmpx_lt_u32_e32 0x7f, v0
	s_cbranch_execz .LBB4_37
; %bb.34:
	v_add_nc_u32_e32 v6, 0xfffffc00, v1
	s_mov_b32 s1, exec_lo
	ds_load_b64 v[6:7], v6
	s_waitcnt lgkmcnt(0)
	v_cmpx_eq_u64_e64 v[3:4], v[6:7]
	s_cbranch_execz .LBB4_36
; %bb.35:
	v_add_nc_u32_e32 v6, 0xfffffe00, v5
	ds_load_b32 v6, v6
	s_waitcnt lgkmcnt(0)
	v_add_f32_e32 v2, v2, v6
.LBB4_36:
	s_or_b32 exec_lo, exec_lo, s1
.LBB4_37:
	s_delay_alu instid0(SALU_CYCLE_1) | instskip(NEXT) | instid1(SALU_CYCLE_1)
	s_or_b32 exec_lo, exec_lo, s0
	s_mov_b32 s1, exec_lo
	s_barrier
	buffer_gl0_inv
	ds_store_b32 v5, v2
	s_waitcnt lgkmcnt(0)
	s_barrier
	buffer_gl0_inv
	v_cmpx_gt_u32_e32 0xff, v0
	s_cbranch_execz .LBB4_41
; %bb.38:
	ds_load_b64 v[5:6], v1 offset:8
	v_cmp_lt_i64_e64 s0, -1, v[3:4]
	s_waitcnt lgkmcnt(0)
	v_cmp_ne_u64_e32 vcc_lo, v[3:4], v[5:6]
	s_delay_alu instid0(VALU_DEP_2) | instskip(NEXT) | instid1(SALU_CYCLE_1)
	s_and_b32 s0, s0, vcc_lo
	s_and_b32 exec_lo, exec_lo, s0
	s_cbranch_execz .LBB4_41
; %bb.39:
	v_lshlrev_b64 v[5:6], 2, v[3:4]
	v_mul_f32_e32 v1, s6, v2
	s_mov_b32 s0, 0
	s_delay_alu instid0(VALU_DEP_2) | instskip(NEXT) | instid1(VALU_DEP_3)
	v_add_co_u32 v5, vcc_lo, s2, v5
	v_add_co_ci_u32_e32 v6, vcc_lo, s3, v6, vcc_lo
	global_load_b32 v8, v[5:6], off
.LBB4_40:                               ; =>This Inner Loop Header: Depth=1
	s_waitcnt vmcnt(0)
	v_add_f32_e32 v7, v8, v1
	global_atomic_cmpswap_b32 v7, v[5:6], v[7:8], off glc
	s_waitcnt vmcnt(0)
	v_cmp_eq_u32_e32 vcc_lo, v7, v8
	v_mov_b32_e32 v8, v7
	s_or_b32 s0, vcc_lo, s0
	s_delay_alu instid0(SALU_CYCLE_1)
	s_and_not1_b32 exec_lo, exec_lo, s0
	s_cbranch_execnz .LBB4_40
.LBB4_41:
	s_or_b32 exec_lo, exec_lo, s1
	v_cmp_lt_i64_e32 vcc_lo, -1, v[3:4]
	v_cmp_eq_u32_e64 s0, 0xff, v0
	s_delay_alu instid0(VALU_DEP_1) | instskip(NEXT) | instid1(SALU_CYCLE_1)
	s_and_b32 s0, s0, vcc_lo
	s_and_saveexec_b32 s1, s0
	s_cbranch_execz .LBB4_44
; %bb.42:
	v_lshlrev_b64 v[0:1], 2, v[3:4]
	v_mul_f32_e32 v4, s6, v2
	s_mov_b32 s0, 0
	s_delay_alu instid0(VALU_DEP_2) | instskip(NEXT) | instid1(VALU_DEP_3)
	v_add_co_u32 v0, vcc_lo, s2, v0
	v_add_co_ci_u32_e32 v1, vcc_lo, s3, v1, vcc_lo
	global_load_b32 v3, v[0:1], off
.LBB4_43:                               ; =>This Inner Loop Header: Depth=1
	s_waitcnt vmcnt(0)
	v_add_f32_e32 v2, v3, v4
	global_atomic_cmpswap_b32 v2, v[0:1], v[2:3], off glc
	s_waitcnt vmcnt(0)
	v_cmp_eq_u32_e32 vcc_lo, v2, v3
	v_mov_b32_e32 v3, v2
	s_or_b32 s0, vcc_lo, s0
	s_delay_alu instid0(SALU_CYCLE_1)
	s_and_not1_b32 exec_lo, exec_lo, s0
	s_cbranch_execnz .LBB4_43
.LBB4_44:
	s_endpgm
	.section	.rodata,"a",@progbits
	.p2align	6, 0x0
	.amdhsa_kernel _ZN9rocsparseL23coomvn_aos_atomic_loopsILj256ELj1ElffffEEvlNS_24const_host_device_scalarIT5_EEPKT1_PKT2_PKT3_PT4_21rocsparse_index_base_b
		.amdhsa_group_segment_fixed_size 3072
		.amdhsa_private_segment_fixed_size 0
		.amdhsa_kernarg_size 56
		.amdhsa_user_sgpr_count 15
		.amdhsa_user_sgpr_dispatch_ptr 0
		.amdhsa_user_sgpr_queue_ptr 0
		.amdhsa_user_sgpr_kernarg_segment_ptr 1
		.amdhsa_user_sgpr_dispatch_id 0
		.amdhsa_user_sgpr_private_segment_size 0
		.amdhsa_wavefront_size32 1
		.amdhsa_uses_dynamic_stack 0
		.amdhsa_enable_private_segment 0
		.amdhsa_system_sgpr_workgroup_id_x 1
		.amdhsa_system_sgpr_workgroup_id_y 0
		.amdhsa_system_sgpr_workgroup_id_z 0
		.amdhsa_system_sgpr_workgroup_info 0
		.amdhsa_system_vgpr_workitem_id 0
		.amdhsa_next_free_vgpr 9
		.amdhsa_next_free_sgpr 16
		.amdhsa_reserve_vcc 1
		.amdhsa_float_round_mode_32 0
		.amdhsa_float_round_mode_16_64 0
		.amdhsa_float_denorm_mode_32 3
		.amdhsa_float_denorm_mode_16_64 3
		.amdhsa_dx10_clamp 1
		.amdhsa_ieee_mode 1
		.amdhsa_fp16_overflow 0
		.amdhsa_workgroup_processor_mode 1
		.amdhsa_memory_ordered 1
		.amdhsa_forward_progress 0
		.amdhsa_shared_vgpr_count 0
		.amdhsa_exception_fp_ieee_invalid_op 0
		.amdhsa_exception_fp_denorm_src 0
		.amdhsa_exception_fp_ieee_div_zero 0
		.amdhsa_exception_fp_ieee_overflow 0
		.amdhsa_exception_fp_ieee_underflow 0
		.amdhsa_exception_fp_ieee_inexact 0
		.amdhsa_exception_int_div_zero 0
	.end_amdhsa_kernel
	.section	.text._ZN9rocsparseL23coomvn_aos_atomic_loopsILj256ELj1ElffffEEvlNS_24const_host_device_scalarIT5_EEPKT1_PKT2_PKT3_PT4_21rocsparse_index_base_b,"axG",@progbits,_ZN9rocsparseL23coomvn_aos_atomic_loopsILj256ELj1ElffffEEvlNS_24const_host_device_scalarIT5_EEPKT1_PKT2_PKT3_PT4_21rocsparse_index_base_b,comdat
.Lfunc_end4:
	.size	_ZN9rocsparseL23coomvn_aos_atomic_loopsILj256ELj1ElffffEEvlNS_24const_host_device_scalarIT5_EEPKT1_PKT2_PKT3_PT4_21rocsparse_index_base_b, .Lfunc_end4-_ZN9rocsparseL23coomvn_aos_atomic_loopsILj256ELj1ElffffEEvlNS_24const_host_device_scalarIT5_EEPKT1_PKT2_PKT3_PT4_21rocsparse_index_base_b
                                        ; -- End function
	.section	.AMDGPU.csdata,"",@progbits
; Kernel info:
; codeLenInByte = 1528
; NumSgprs: 18
; NumVgprs: 9
; ScratchSize: 0
; MemoryBound: 0
; FloatMode: 240
; IeeeMode: 1
; LDSByteSize: 3072 bytes/workgroup (compile time only)
; SGPRBlocks: 2
; VGPRBlocks: 1
; NumSGPRsForWavesPerEU: 18
; NumVGPRsForWavesPerEU: 9
; Occupancy: 16
; WaveLimiterHint : 1
; COMPUTE_PGM_RSRC2:SCRATCH_EN: 0
; COMPUTE_PGM_RSRC2:USER_SGPR: 15
; COMPUTE_PGM_RSRC2:TRAP_HANDLER: 0
; COMPUTE_PGM_RSRC2:TGID_X_EN: 1
; COMPUTE_PGM_RSRC2:TGID_Y_EN: 0
; COMPUTE_PGM_RSRC2:TGID_Z_EN: 0
; COMPUTE_PGM_RSRC2:TIDIG_COMP_CNT: 0
	.section	.text._ZN9rocsparseL17coomvt_aos_kernelILj1024ElffffEEv20rocsparse_operation_lNS_24const_host_device_scalarIT4_EEPKT0_PKT1_PKT2_PT3_21rocsparse_index_base_b,"axG",@progbits,_ZN9rocsparseL17coomvt_aos_kernelILj1024ElffffEEv20rocsparse_operation_lNS_24const_host_device_scalarIT4_EEPKT0_PKT1_PKT2_PT3_21rocsparse_index_base_b,comdat
	.globl	_ZN9rocsparseL17coomvt_aos_kernelILj1024ElffffEEv20rocsparse_operation_lNS_24const_host_device_scalarIT4_EEPKT0_PKT1_PKT2_PT3_21rocsparse_index_base_b ; -- Begin function _ZN9rocsparseL17coomvt_aos_kernelILj1024ElffffEEv20rocsparse_operation_lNS_24const_host_device_scalarIT4_EEPKT0_PKT1_PKT2_PT3_21rocsparse_index_base_b
	.p2align	8
	.type	_ZN9rocsparseL17coomvt_aos_kernelILj1024ElffffEEv20rocsparse_operation_lNS_24const_host_device_scalarIT4_EEPKT0_PKT1_PKT2_PT3_21rocsparse_index_base_b,@function
_ZN9rocsparseL17coomvt_aos_kernelILj1024ElffffEEv20rocsparse_operation_lNS_24const_host_device_scalarIT4_EEPKT0_PKT1_PKT2_PT3_21rocsparse_index_base_b: ; @_ZN9rocsparseL17coomvt_aos_kernelILj1024ElffffEEv20rocsparse_operation_lNS_24const_host_device_scalarIT4_EEPKT0_PKT1_PKT2_PT3_21rocsparse_index_base_b
; %bb.0:
	s_clause 0x1
	s_load_b64 s[2:3], s[0:1], 0x38
	s_load_b128 s[4:7], s[0:1], 0x8
	s_waitcnt lgkmcnt(0)
	s_bitcmp1_b32 s3, 0
	s_cselect_b32 s3, -1, 0
	s_delay_alu instid0(SALU_CYCLE_1)
	s_and_b32 vcc_lo, exec_lo, s3
	s_cbranch_vccnz .LBB5_2
; %bb.1:
	s_load_b32 s6, s[6:7], 0x0
.LBB5_2:
	s_waitcnt lgkmcnt(0)
	v_cmp_eq_f32_e64 s3, s6, 0
	s_delay_alu instid0(VALU_DEP_1)
	s_and_b32 vcc_lo, exec_lo, s3
	s_cbranch_vccnz .LBB5_6
; %bb.3:
	s_load_b32 s3, s[0:1], 0x4c
	s_waitcnt lgkmcnt(0)
	s_and_b32 s3, s3, 0xffff
	s_delay_alu instid0(SALU_CYCLE_1) | instskip(SKIP_2) | instid1(VALU_DEP_1)
	v_mad_u64_u32 v[1:2], null, s15, s3, v[0:1]
	v_mov_b32_e32 v2, 0
	s_mov_b32 s3, exec_lo
	v_cmpx_gt_i64_e64 s[4:5], v[1:2]
	s_cbranch_execz .LBB5_6
; %bb.4:
	s_load_b256 s[8:15], s[0:1], 0x18
	v_lshlrev_b64 v[3:4], 4, v[1:2]
	v_lshlrev_b64 v[0:1], 2, v[1:2]
	s_mov_b32 s0, 0
	s_waitcnt lgkmcnt(0)
	s_delay_alu instid0(VALU_DEP_2) | instskip(NEXT) | instid1(VALU_DEP_3)
	v_add_co_u32 v3, vcc_lo, s8, v3
	v_add_co_ci_u32_e32 v4, vcc_lo, s9, v4, vcc_lo
	s_delay_alu instid0(VALU_DEP_3)
	v_add_co_u32 v0, vcc_lo, s10, v0
	v_add_co_ci_u32_e32 v1, vcc_lo, s11, v1, vcc_lo
	global_load_b128 v[3:6], v[3:4], off
	s_waitcnt vmcnt(0)
	v_sub_co_u32 v2, vcc_lo, v3, s2
	v_subrev_co_ci_u32_e32 v3, vcc_lo, 0, v4, vcc_lo
	v_sub_co_u32 v4, vcc_lo, v5, s2
	v_subrev_co_ci_u32_e32 v5, vcc_lo, 0, v6, vcc_lo
	s_delay_alu instid0(VALU_DEP_3) | instskip(SKIP_4) | instid1(VALU_DEP_3)
	v_lshlrev_b64 v[2:3], 2, v[2:3]
	global_load_b32 v6, v[0:1], off
	v_lshlrev_b64 v[0:1], 2, v[4:5]
	v_add_co_u32 v2, vcc_lo, s12, v2
	v_add_co_ci_u32_e32 v3, vcc_lo, s13, v3, vcc_lo
	v_add_co_u32 v0, vcc_lo, s14, v0
	s_delay_alu instid0(VALU_DEP_4)
	v_add_co_ci_u32_e32 v1, vcc_lo, s15, v1, vcc_lo
	global_load_b32 v2, v[2:3], off
	global_load_b32 v3, v[0:1], off
	s_waitcnt vmcnt(2)
	v_mul_f32_e32 v4, s6, v6
	s_waitcnt vmcnt(1)
	s_delay_alu instid0(VALU_DEP_1)
	v_mul_f32_e32 v4, v4, v2
.LBB5_5:                                ; =>This Inner Loop Header: Depth=1
	s_waitcnt vmcnt(0)
	s_delay_alu instid0(VALU_DEP_1)
	v_add_f32_e32 v2, v3, v4
	global_atomic_cmpswap_b32 v2, v[0:1], v[2:3], off glc
	s_waitcnt vmcnt(0)
	v_cmp_eq_u32_e32 vcc_lo, v2, v3
	v_mov_b32_e32 v3, v2
	s_or_b32 s0, vcc_lo, s0
	s_delay_alu instid0(SALU_CYCLE_1)
	s_and_not1_b32 exec_lo, exec_lo, s0
	s_cbranch_execnz .LBB5_5
.LBB5_6:
	s_endpgm
	.section	.rodata,"a",@progbits
	.p2align	6, 0x0
	.amdhsa_kernel _ZN9rocsparseL17coomvt_aos_kernelILj1024ElffffEEv20rocsparse_operation_lNS_24const_host_device_scalarIT4_EEPKT0_PKT1_PKT2_PT3_21rocsparse_index_base_b
		.amdhsa_group_segment_fixed_size 0
		.amdhsa_private_segment_fixed_size 0
		.amdhsa_kernarg_size 320
		.amdhsa_user_sgpr_count 15
		.amdhsa_user_sgpr_dispatch_ptr 0
		.amdhsa_user_sgpr_queue_ptr 0
		.amdhsa_user_sgpr_kernarg_segment_ptr 1
		.amdhsa_user_sgpr_dispatch_id 0
		.amdhsa_user_sgpr_private_segment_size 0
		.amdhsa_wavefront_size32 1
		.amdhsa_uses_dynamic_stack 0
		.amdhsa_enable_private_segment 0
		.amdhsa_system_sgpr_workgroup_id_x 1
		.amdhsa_system_sgpr_workgroup_id_y 0
		.amdhsa_system_sgpr_workgroup_id_z 0
		.amdhsa_system_sgpr_workgroup_info 0
		.amdhsa_system_vgpr_workitem_id 0
		.amdhsa_next_free_vgpr 7
		.amdhsa_next_free_sgpr 16
		.amdhsa_reserve_vcc 1
		.amdhsa_float_round_mode_32 0
		.amdhsa_float_round_mode_16_64 0
		.amdhsa_float_denorm_mode_32 3
		.amdhsa_float_denorm_mode_16_64 3
		.amdhsa_dx10_clamp 1
		.amdhsa_ieee_mode 1
		.amdhsa_fp16_overflow 0
		.amdhsa_workgroup_processor_mode 1
		.amdhsa_memory_ordered 1
		.amdhsa_forward_progress 0
		.amdhsa_shared_vgpr_count 0
		.amdhsa_exception_fp_ieee_invalid_op 0
		.amdhsa_exception_fp_denorm_src 0
		.amdhsa_exception_fp_ieee_div_zero 0
		.amdhsa_exception_fp_ieee_overflow 0
		.amdhsa_exception_fp_ieee_underflow 0
		.amdhsa_exception_fp_ieee_inexact 0
		.amdhsa_exception_int_div_zero 0
	.end_amdhsa_kernel
	.section	.text._ZN9rocsparseL17coomvt_aos_kernelILj1024ElffffEEv20rocsparse_operation_lNS_24const_host_device_scalarIT4_EEPKT0_PKT1_PKT2_PT3_21rocsparse_index_base_b,"axG",@progbits,_ZN9rocsparseL17coomvt_aos_kernelILj1024ElffffEEv20rocsparse_operation_lNS_24const_host_device_scalarIT4_EEPKT0_PKT1_PKT2_PT3_21rocsparse_index_base_b,comdat
.Lfunc_end5:
	.size	_ZN9rocsparseL17coomvt_aos_kernelILj1024ElffffEEv20rocsparse_operation_lNS_24const_host_device_scalarIT4_EEPKT0_PKT1_PKT2_PT3_21rocsparse_index_base_b, .Lfunc_end5-_ZN9rocsparseL17coomvt_aos_kernelILj1024ElffffEEv20rocsparse_operation_lNS_24const_host_device_scalarIT4_EEPKT0_PKT1_PKT2_PT3_21rocsparse_index_base_b
                                        ; -- End function
	.section	.AMDGPU.csdata,"",@progbits
; Kernel info:
; codeLenInByte = 372
; NumSgprs: 18
; NumVgprs: 7
; ScratchSize: 0
; MemoryBound: 0
; FloatMode: 240
; IeeeMode: 1
; LDSByteSize: 0 bytes/workgroup (compile time only)
; SGPRBlocks: 2
; VGPRBlocks: 0
; NumSGPRsForWavesPerEU: 18
; NumVGPRsForWavesPerEU: 7
; Occupancy: 16
; WaveLimiterHint : 1
; COMPUTE_PGM_RSRC2:SCRATCH_EN: 0
; COMPUTE_PGM_RSRC2:USER_SGPR: 15
; COMPUTE_PGM_RSRC2:TRAP_HANDLER: 0
; COMPUTE_PGM_RSRC2:TGID_X_EN: 1
; COMPUTE_PGM_RSRC2:TGID_Y_EN: 0
; COMPUTE_PGM_RSRC2:TGID_Z_EN: 0
; COMPUTE_PGM_RSRC2:TIDIG_COMP_CNT: 0
	.section	.text._ZN9rocsparseL26coomvn_aos_segmented_loopsILj256ElffffEEvlT0_NS_24const_host_device_scalarIT4_EEPKS1_PKT1_PKT2_PT3_PS1_PS3_21rocsparse_index_base_b,"axG",@progbits,_ZN9rocsparseL26coomvn_aos_segmented_loopsILj256ElffffEEvlT0_NS_24const_host_device_scalarIT4_EEPKS1_PKT1_PKT2_PT3_PS1_PS3_21rocsparse_index_base_b,comdat
	.globl	_ZN9rocsparseL26coomvn_aos_segmented_loopsILj256ElffffEEvlT0_NS_24const_host_device_scalarIT4_EEPKS1_PKT1_PKT2_PT3_PS1_PS3_21rocsparse_index_base_b ; -- Begin function _ZN9rocsparseL26coomvn_aos_segmented_loopsILj256ElffffEEvlT0_NS_24const_host_device_scalarIT4_EEPKS1_PKT1_PKT2_PT3_PS1_PS3_21rocsparse_index_base_b
	.p2align	8
	.type	_ZN9rocsparseL26coomvn_aos_segmented_loopsILj256ElffffEEvlT0_NS_24const_host_device_scalarIT4_EEPKS1_PKT1_PKT2_PT3_PS1_PS3_21rocsparse_index_base_b,@function
_ZN9rocsparseL26coomvn_aos_segmented_loopsILj256ElffffEEvlT0_NS_24const_host_device_scalarIT4_EEPKS1_PKT1_PKT2_PT3_PS1_PS3_21rocsparse_index_base_b: ; @_ZN9rocsparseL26coomvn_aos_segmented_loopsILj256ElffffEEvlT0_NS_24const_host_device_scalarIT4_EEPKS1_PKT1_PKT2_PT3_PS1_PS3_21rocsparse_index_base_b
; %bb.0:
	s_clause 0x1
	s_load_b64 s[28:29], s[0:1], 0x48
	s_load_b64 s[26:27], s[0:1], 0x10
	s_mov_b32 s24, s15
	s_waitcnt lgkmcnt(0)
	s_bitcmp1_b32 s29, 0
	s_cselect_b32 s2, -1, 0
	s_delay_alu instid0(SALU_CYCLE_1)
	s_and_b32 vcc_lo, exec_lo, s2
	s_cbranch_vccnz .LBB6_2
; %bb.1:
	s_load_b32 s26, s[26:27], 0x0
.LBB6_2:
	s_waitcnt lgkmcnt(0)
	v_cmp_eq_f32_e64 s2, s26, 0
	s_mov_b32 s25, 0
	s_delay_alu instid0(VALU_DEP_1)
	s_and_b32 vcc_lo, exec_lo, s2
	s_cbranch_vccnz .LBB6_89
; %bb.3:
	s_clause 0x2
	s_load_b128 s[16:19], s[0:1], 0x0
	s_load_b128 s[20:23], s[0:1], 0x18
	s_load_b64 s[36:37], s[0:1], 0x28
	v_mov_b32_e32 v1, -1
	v_dual_mov_b32 v2, -1 :: v_dual_mov_b32 v15, 0
	s_waitcnt lgkmcnt(0)
	s_mul_i32 s3, s24, s19
	s_mul_hi_u32 s4, s24, s18
	s_mul_i32 s2, s24, s18
	s_add_i32 s3, s4, s3
	s_delay_alu instid0(SALU_CYCLE_1) | instskip(NEXT) | instid1(SALU_CYCLE_1)
	s_lshl_b64 s[2:3], s[2:3], 8
	v_mov_b32_e32 v4, s3
	v_or_b32_e32 v3, s2, v0
	s_mov_b32 s2, exec_lo
	s_delay_alu instid0(VALU_DEP_1)
	v_cmpx_gt_i64_e64 s[16:17], v[3:4]
	s_cbranch_execz .LBB6_5
; %bb.4:
	v_lshlrev_b64 v[1:2], 4, v[3:4]
	s_ashr_i32 s29, s28, 31
	s_delay_alu instid0(SALU_CYCLE_1) | instskip(NEXT) | instid1(VALU_DEP_1)
	s_lshl_b64 s[4:5], s[28:29], 2
	v_add_co_u32 v1, vcc_lo, s20, v1
	s_delay_alu instid0(VALU_DEP_2) | instskip(SKIP_4) | instid1(VALU_DEP_2)
	v_add_co_ci_u32_e32 v2, vcc_lo, s21, v2, vcc_lo
	global_load_b128 v[5:8], v[1:2], off slc dlc
	s_waitcnt vmcnt(0)
	v_lshlrev_b64 v[1:2], 2, v[7:8]
	v_lshlrev_b64 v[7:8], 2, v[3:4]
	v_add_co_u32 v9, vcc_lo, s36, v1
	s_delay_alu instid0(VALU_DEP_3) | instskip(NEXT) | instid1(VALU_DEP_3)
	v_add_co_ci_u32_e32 v10, vcc_lo, s37, v2, vcc_lo
	v_add_co_u32 v1, vcc_lo, s22, v7
	s_delay_alu instid0(VALU_DEP_4) | instskip(NEXT) | instid1(VALU_DEP_4)
	v_add_co_ci_u32_e32 v2, vcc_lo, s23, v8, vcc_lo
	v_sub_co_u32 v7, vcc_lo, v9, s4
	s_delay_alu instid0(VALU_DEP_4)
	v_subrev_co_ci_u32_e32 v8, vcc_lo, s5, v10, vcc_lo
	global_load_b32 v9, v[1:2], off slc dlc
	global_load_b32 v7, v[7:8], off
	v_sub_co_u32 v1, vcc_lo, v5, s28
	v_subrev_co_ci_u32_e32 v2, vcc_lo, 0, v6, vcc_lo
	s_waitcnt vmcnt(0)
	v_mul_f32_e32 v15, v9, v7
.LBB6_5:
	s_or_b32 exec_lo, exec_lo, s2
	v_lshlrev_b32_e32 v5, 2, v0
	v_lshlrev_b32_e32 v11, 3, v0
	v_cmp_eq_u32_e64 s2, 0, v0
	v_cmp_ne_u32_e64 s3, 0, v0
	ds_store_b64 v11, v[1:2]
	ds_store_b32 v5, v15 offset:2048
	v_or_b32_e32 v12, 0x800, v5
	v_add_nc_u32_e32 v13, -8, v11
	s_waitcnt lgkmcnt(0)
	s_barrier
	buffer_gl0_inv
	s_and_saveexec_b32 s4, s3
	s_cbranch_execz .LBB6_9
; %bb.6:
	ds_load_b64 v[6:7], v13
	s_mov_b32 s5, exec_lo
	s_waitcnt lgkmcnt(0)
	v_cmpx_eq_u64_e64 v[1:2], v[6:7]
	s_cbranch_execz .LBB6_8
; %bb.7:
	v_add_nc_u32_e32 v6, -4, v12
	ds_load_b32 v6, v6
	s_waitcnt lgkmcnt(0)
	v_add_f32_e32 v15, v15, v6
.LBB6_8:
	s_or_b32 exec_lo, exec_lo, s5
.LBB6_9:
	s_delay_alu instid0(SALU_CYCLE_1)
	s_or_b32 exec_lo, exec_lo, s4
	v_cmp_lt_u32_e64 s4, 1, v0
	v_add_nc_u32_e32 v14, -16, v11
	s_barrier
	buffer_gl0_inv
	ds_store_b32 v12, v15
	s_waitcnt lgkmcnt(0)
	s_barrier
	buffer_gl0_inv
	s_and_saveexec_b32 s5, s4
	s_cbranch_execz .LBB6_13
; %bb.10:
	ds_load_b64 v[6:7], v14
	s_mov_b32 s6, exec_lo
	s_waitcnt lgkmcnt(0)
	v_cmpx_eq_u64_e64 v[1:2], v[6:7]
	s_cbranch_execz .LBB6_12
; %bb.11:
	v_add_nc_u32_e32 v6, -8, v12
	ds_load_b32 v6, v6
	s_waitcnt lgkmcnt(0)
	v_add_f32_e32 v15, v15, v6
.LBB6_12:
	s_or_b32 exec_lo, exec_lo, s6
.LBB6_13:
	s_delay_alu instid0(SALU_CYCLE_1)
	s_or_b32 exec_lo, exec_lo, s5
	v_cmp_lt_u32_e64 s5, 3, v0
	v_subrev_nc_u32_e32 v16, 32, v11
	s_barrier
	buffer_gl0_inv
	ds_store_b32 v12, v15
	s_waitcnt lgkmcnt(0)
	s_barrier
	buffer_gl0_inv
	s_and_saveexec_b32 s6, s5
	s_cbranch_execz .LBB6_17
; %bb.14:
	ds_load_b64 v[6:7], v16
	s_mov_b32 s7, exec_lo
	s_waitcnt lgkmcnt(0)
	v_cmpx_eq_u64_e64 v[1:2], v[6:7]
	s_cbranch_execz .LBB6_16
; %bb.15:
	v_add_nc_u32_e32 v6, -16, v12
	ds_load_b32 v6, v6
	s_waitcnt lgkmcnt(0)
	v_add_f32_e32 v15, v15, v6
.LBB6_16:
	s_or_b32 exec_lo, exec_lo, s7
.LBB6_17:
	s_delay_alu instid0(SALU_CYCLE_1)
	s_or_b32 exec_lo, exec_lo, s6
	v_cmp_lt_u32_e64 s6, 7, v0
	v_subrev_nc_u32_e32 v17, 64, v11
	s_barrier
	buffer_gl0_inv
	ds_store_b32 v12, v15
	s_waitcnt lgkmcnt(0)
	s_barrier
	buffer_gl0_inv
	s_and_saveexec_b32 s7, s6
	s_cbranch_execz .LBB6_21
; %bb.18:
	ds_load_b64 v[6:7], v17
	s_mov_b32 s8, exec_lo
	s_waitcnt lgkmcnt(0)
	v_cmpx_eq_u64_e64 v[1:2], v[6:7]
	s_cbranch_execz .LBB6_20
; %bb.19:
	v_subrev_nc_u32_e32 v6, 32, v12
	ds_load_b32 v6, v6
	s_waitcnt lgkmcnt(0)
	v_add_f32_e32 v15, v15, v6
.LBB6_20:
	s_or_b32 exec_lo, exec_lo, s8
.LBB6_21:
	s_delay_alu instid0(SALU_CYCLE_1)
	s_or_b32 exec_lo, exec_lo, s7
	v_cmp_lt_u32_e64 s7, 15, v0
	v_add_nc_u32_e32 v18, 0xffffff80, v11
	s_barrier
	buffer_gl0_inv
	ds_store_b32 v12, v15
	s_waitcnt lgkmcnt(0)
	s_barrier
	buffer_gl0_inv
	s_and_saveexec_b32 s8, s7
	s_cbranch_execz .LBB6_25
; %bb.22:
	ds_load_b64 v[6:7], v18
	s_mov_b32 s9, exec_lo
	s_waitcnt lgkmcnt(0)
	v_cmpx_eq_u64_e64 v[1:2], v[6:7]
	s_cbranch_execz .LBB6_24
; %bb.23:
	v_subrev_nc_u32_e32 v6, 64, v12
	ds_load_b32 v6, v6
	s_waitcnt lgkmcnt(0)
	v_add_f32_e32 v15, v15, v6
.LBB6_24:
	s_or_b32 exec_lo, exec_lo, s9
.LBB6_25:
	s_delay_alu instid0(SALU_CYCLE_1)
	s_or_b32 exec_lo, exec_lo, s8
	v_cmp_lt_u32_e64 s8, 31, v0
	v_add_nc_u32_e32 v19, 0xffffff00, v11
	s_barrier
	buffer_gl0_inv
	ds_store_b32 v12, v15
	s_waitcnt lgkmcnt(0)
	s_barrier
	buffer_gl0_inv
	s_and_saveexec_b32 s9, s8
	s_cbranch_execz .LBB6_29
; %bb.26:
	ds_load_b64 v[6:7], v19
	s_mov_b32 s10, exec_lo
	s_waitcnt lgkmcnt(0)
	v_cmpx_eq_u64_e64 v[1:2], v[6:7]
	s_cbranch_execz .LBB6_28
; %bb.27:
	v_add_nc_u32_e32 v6, 0xffffff80, v12
	ds_load_b32 v6, v6
	s_waitcnt lgkmcnt(0)
	v_add_f32_e32 v15, v15, v6
.LBB6_28:
	s_or_b32 exec_lo, exec_lo, s10
.LBB6_29:
	s_delay_alu instid0(SALU_CYCLE_1)
	s_or_b32 exec_lo, exec_lo, s9
	v_cmp_lt_u32_e64 s9, 63, v0
	v_add_nc_u32_e32 v20, 0xfffffe00, v11
	s_barrier
	buffer_gl0_inv
	ds_store_b32 v12, v15
	s_waitcnt lgkmcnt(0)
	s_barrier
	buffer_gl0_inv
	s_and_saveexec_b32 s10, s9
	s_cbranch_execz .LBB6_33
; %bb.30:
	ds_load_b64 v[6:7], v20
	s_mov_b32 s11, exec_lo
	s_waitcnt lgkmcnt(0)
	v_cmpx_eq_u64_e64 v[1:2], v[6:7]
	s_cbranch_execz .LBB6_32
; %bb.31:
	v_add_nc_u32_e32 v6, 0xffffff00, v12
	ds_load_b32 v6, v6
	s_waitcnt lgkmcnt(0)
	v_add_f32_e32 v15, v15, v6
.LBB6_32:
	s_or_b32 exec_lo, exec_lo, s11
.LBB6_33:
	s_delay_alu instid0(SALU_CYCLE_1)
	s_or_b32 exec_lo, exec_lo, s10
	s_load_b64 s[30:31], s[0:1], 0x30
	v_cmp_lt_u32_e64 s10, 0x7f, v0
	v_add_nc_u32_e32 v21, 0xfffffc00, v11
	s_waitcnt lgkmcnt(0)
	s_barrier
	buffer_gl0_inv
	ds_store_b32 v12, v15
	s_waitcnt lgkmcnt(0)
	s_barrier
	buffer_gl0_inv
	s_and_saveexec_b32 s11, s10
	s_cbranch_execz .LBB6_37
; %bb.34:
	ds_load_b64 v[6:7], v21
	s_mov_b32 s12, exec_lo
	s_waitcnt lgkmcnt(0)
	v_cmpx_eq_u64_e64 v[1:2], v[6:7]
	s_cbranch_execz .LBB6_36
; %bb.35:
	v_add_nc_u32_e32 v6, 0xfffffe00, v12
	ds_load_b32 v6, v6
	s_waitcnt lgkmcnt(0)
	v_add_f32_e32 v15, v15, v6
.LBB6_36:
	s_or_b32 exec_lo, exec_lo, s12
.LBB6_37:
	s_delay_alu instid0(SALU_CYCLE_1)
	s_or_b32 exec_lo, exec_lo, s11
	v_cmp_gt_u32_e64 s11, 0xff, v0
	s_barrier
	buffer_gl0_inv
	ds_store_b32 v12, v15
	s_waitcnt lgkmcnt(0)
	s_barrier
	buffer_gl0_inv
	s_and_saveexec_b32 s13, s11
	s_cbranch_execz .LBB6_40
; %bb.38:
	ds_load_b64 v[6:7], v11 offset:8
	v_cmp_lt_i64_e64 s12, -1, v[1:2]
	s_waitcnt lgkmcnt(0)
	v_cmp_ne_u64_e32 vcc_lo, v[1:2], v[6:7]
	s_delay_alu instid0(VALU_DEP_2) | instskip(NEXT) | instid1(SALU_CYCLE_1)
	s_and_b32 s12, s12, vcc_lo
	s_and_b32 exec_lo, exec_lo, s12
	s_cbranch_execz .LBB6_40
; %bb.39:
	v_lshlrev_b64 v[6:7], 2, v[1:2]
	s_delay_alu instid0(VALU_DEP_1) | instskip(NEXT) | instid1(VALU_DEP_2)
	v_add_co_u32 v6, vcc_lo, s30, v6
	v_add_co_ci_u32_e32 v7, vcc_lo, s31, v7, vcc_lo
	global_load_b32 v8, v[6:7], off
	s_waitcnt vmcnt(0)
	v_fmac_f32_e32 v8, s26, v15
	global_store_b32 v[6:7], v8, off
.LBB6_40:
	s_or_b32 exec_lo, exec_lo, s13
	s_load_b128 s[12:15], s[0:1], 0x38
	v_cmp_lt_i64_e64 s0, s[18:19], 2
	s_delay_alu instid0(VALU_DEP_1)
	s_and_b32 vcc_lo, exec_lo, s0
	s_cbranch_vccnz .LBB6_87
; %bb.41:
	s_add_u32 s34, s18, -1
	s_addc_u32 s35, s19, -1
	s_ashr_i32 s29, s28, 31
	s_mul_i32 s0, s19, s24
	s_lshl_b64 s[38:39], s[28:29], 2
	s_mul_hi_u32 s19, s18, s24
	s_sub_u32 s1, s36, s38
	s_subb_u32 s27, s37, s39
	s_add_i32 s19, s19, s0
	s_mul_i32 s18, s18, s24
	v_lshlrev_b32_e32 v1, 4, v0
	s_lshl_b64 s[36:37], s[18:19], 10
	v_add_nc_u32_e32 v22, -4, v12
	s_add_u32 s0, s22, s36
	s_addc_u32 s22, s23, s37
	s_lshl_b64 s[18:19], s[18:19], 12
	v_add_co_u32 v2, s0, s0, v5
	s_delay_alu instid0(VALU_DEP_1) | instskip(SKIP_3) | instid1(VALU_DEP_1)
	v_add_co_ci_u32_e64 v6, null, s22, 0, s0
	s_add_u32 s0, s20, s18
	s_addc_u32 s18, s21, s19
	v_add_co_u32 v1, s0, s0, v1
	v_add_co_ci_u32_e64 v8, null, s18, 0, s0
	v_add_co_u32 v5, vcc_lo, 0x400, v2
	v_add_co_ci_u32_e32 v6, vcc_lo, 0, v6, vcc_lo
	s_delay_alu instid0(VALU_DEP_4) | instskip(NEXT) | instid1(VALU_DEP_4)
	v_add_co_u32 v7, vcc_lo, 0x1008, v1
	v_add_co_ci_u32_e32 v8, vcc_lo, 0, v8, vcc_lo
	v_add_co_u32 v3, vcc_lo, 0x100, v3
	v_dual_mov_b32 v30, 0 :: v_dual_add_nc_u32 v23, -8, v12
	v_add_nc_u32_e32 v24, -16, v12
	v_subrev_nc_u32_e32 v25, 32, v12
	v_subrev_nc_u32_e32 v26, 64, v12
	v_add_nc_u32_e32 v27, 0xffffff80, v12
	v_add_nc_u32_e32 v28, 0xffffff00, v12
	;; [unrolled: 1-line block ×3, first 2 shown]
	v_add_co_ci_u32_e32 v4, vcc_lo, 0, v4, vcc_lo
	s_mov_b64 s[18:19], 0
	s_branch .LBB6_43
.LBB6_42:                               ;   in Loop: Header=BB6_43 Depth=1
	s_or_b32 exec_lo, exec_lo, s20
	v_add_co_u32 v5, vcc_lo, 0x400, v5
	s_add_u32 s18, s18, 1
	v_add_co_ci_u32_e32 v6, vcc_lo, 0, v6, vcc_lo
	s_addc_u32 s19, s19, 0
	v_add_co_u32 v7, vcc_lo, 0x1000, v7
	v_cmp_le_u64_e64 s0, s[34:35], s[18:19]
	v_add_co_ci_u32_e32 v8, vcc_lo, 0, v8, vcc_lo
	v_add_co_u32 v3, vcc_lo, 0x100, v3
	v_add_co_ci_u32_e32 v4, vcc_lo, 0, v4, vcc_lo
	s_delay_alu instid0(VALU_DEP_4)
	s_and_b32 vcc_lo, exec_lo, s0
	s_cbranch_vccnz .LBB6_87
.LBB6_43:                               ; =>This Inner Loop Header: Depth=1
	v_mov_b32_e32 v1, -1
	v_dual_mov_b32 v2, -1 :: v_dual_mov_b32 v15, 0
	s_mov_b32 s0, exec_lo
	v_cmpx_gt_i64_e64 s[16:17], v[3:4]
	s_cbranch_execz .LBB6_45
; %bb.44:                               ;   in Loop: Header=BB6_43 Depth=1
	global_load_b128 v[31:34], v[7:8], off offset:-8 slc dlc
	s_waitcnt vmcnt(0)
	v_lshlrev_b64 v[1:2], 2, v[33:34]
	s_delay_alu instid0(VALU_DEP_1) | instskip(NEXT) | instid1(VALU_DEP_2)
	v_add_co_u32 v1, vcc_lo, s1, v1
	v_add_co_ci_u32_e32 v2, vcc_lo, s27, v2, vcc_lo
	global_load_b32 v9, v[5:6], off slc dlc
	global_load_b32 v10, v[1:2], off
	v_sub_co_u32 v1, vcc_lo, v31, s28
	v_subrev_co_ci_u32_e32 v2, vcc_lo, 0, v32, vcc_lo
	s_waitcnt vmcnt(0)
	v_mul_f32_e32 v15, v9, v10
.LBB6_45:                               ;   in Loop: Header=BB6_43 Depth=1
	s_or_b32 exec_lo, exec_lo, s0
	s_and_saveexec_b32 s0, s2
	s_cbranch_execz .LBB6_52
; %bb.46:                               ;   in Loop: Header=BB6_43 Depth=1
	ds_load_b64 v[9:10], v30 offset:2040
	s_mov_b32 s20, exec_lo
	s_waitcnt lgkmcnt(0)
	v_cmpx_ne_u64_e64 v[1:2], v[9:10]
	s_xor_b32 s20, exec_lo, s20
	s_cbranch_execz .LBB6_49
; %bb.47:                               ;   in Loop: Header=BB6_43 Depth=1
	v_cmp_gt_i64_e32 vcc_lo, 0, v[9:10]
	s_cbranch_vccnz .LBB6_49
; %bb.48:                               ;   in Loop: Header=BB6_43 Depth=1
	v_lshlrev_b64 v[9:10], 2, v[9:10]
	ds_load_b32 v32, v30 offset:3068
	v_add_co_u32 v9, vcc_lo, s30, v9
	v_add_co_ci_u32_e32 v10, vcc_lo, s31, v10, vcc_lo
	global_load_b32 v31, v[9:10], off
	s_waitcnt vmcnt(0) lgkmcnt(0)
	v_fmac_f32_e32 v31, s26, v32
	global_store_b32 v[9:10], v31, off
.LBB6_49:                               ;   in Loop: Header=BB6_43 Depth=1
	s_and_not1_saveexec_b32 s20, s20
	s_cbranch_execz .LBB6_51
; %bb.50:                               ;   in Loop: Header=BB6_43 Depth=1
	ds_load_b32 v9, v30 offset:3068
	s_waitcnt lgkmcnt(0)
	v_add_f32_e32 v15, v15, v9
.LBB6_51:                               ;   in Loop: Header=BB6_43 Depth=1
	s_or_b32 exec_lo, exec_lo, s20
.LBB6_52:                               ;   in Loop: Header=BB6_43 Depth=1
	s_delay_alu instid0(SALU_CYCLE_1)
	s_or_b32 exec_lo, exec_lo, s0
	s_waitcnt lgkmcnt(0)
	s_waitcnt_vscnt null, 0x0
	s_barrier
	buffer_gl0_inv
	ds_store_b64 v11, v[1:2]
	ds_store_b32 v12, v15
	s_waitcnt lgkmcnt(0)
	s_barrier
	buffer_gl0_inv
	s_and_saveexec_b32 s0, s3
	s_cbranch_execz .LBB6_56
; %bb.53:                               ;   in Loop: Header=BB6_43 Depth=1
	ds_load_b64 v[9:10], v13
	s_mov_b32 s20, exec_lo
	s_waitcnt lgkmcnt(0)
	v_cmpx_eq_u64_e64 v[1:2], v[9:10]
	s_cbranch_execz .LBB6_55
; %bb.54:                               ;   in Loop: Header=BB6_43 Depth=1
	ds_load_b32 v9, v22
	s_waitcnt lgkmcnt(0)
	v_add_f32_e32 v15, v15, v9
.LBB6_55:                               ;   in Loop: Header=BB6_43 Depth=1
	s_or_b32 exec_lo, exec_lo, s20
.LBB6_56:                               ;   in Loop: Header=BB6_43 Depth=1
	s_delay_alu instid0(SALU_CYCLE_1)
	s_or_b32 exec_lo, exec_lo, s0
	s_barrier
	buffer_gl0_inv
	ds_store_b32 v12, v15
	s_waitcnt lgkmcnt(0)
	s_barrier
	buffer_gl0_inv
	s_and_saveexec_b32 s0, s4
	s_cbranch_execz .LBB6_60
; %bb.57:                               ;   in Loop: Header=BB6_43 Depth=1
	ds_load_b64 v[9:10], v14
	s_mov_b32 s20, exec_lo
	s_waitcnt lgkmcnt(0)
	v_cmpx_eq_u64_e64 v[1:2], v[9:10]
	s_cbranch_execz .LBB6_59
; %bb.58:                               ;   in Loop: Header=BB6_43 Depth=1
	ds_load_b32 v9, v23
	s_waitcnt lgkmcnt(0)
	v_add_f32_e32 v15, v15, v9
.LBB6_59:                               ;   in Loop: Header=BB6_43 Depth=1
	s_or_b32 exec_lo, exec_lo, s20
.LBB6_60:                               ;   in Loop: Header=BB6_43 Depth=1
	s_delay_alu instid0(SALU_CYCLE_1)
	s_or_b32 exec_lo, exec_lo, s0
	s_barrier
	buffer_gl0_inv
	;; [unrolled: 23-line block ×8, first 2 shown]
	ds_store_b32 v12, v15
	s_waitcnt lgkmcnt(0)
	s_barrier
	buffer_gl0_inv
	s_and_saveexec_b32 s20, s11
	s_cbranch_execz .LBB6_42
; %bb.85:                               ;   in Loop: Header=BB6_43 Depth=1
	ds_load_b64 v[9:10], v11 offset:8
	v_cmp_lt_i64_e64 s0, -1, v[1:2]
	s_waitcnt lgkmcnt(0)
	v_cmp_ne_u64_e32 vcc_lo, v[1:2], v[9:10]
	s_delay_alu instid0(VALU_DEP_2) | instskip(NEXT) | instid1(SALU_CYCLE_1)
	s_and_b32 s0, s0, vcc_lo
	s_and_b32 exec_lo, exec_lo, s0
	s_cbranch_execz .LBB6_42
; %bb.86:                               ;   in Loop: Header=BB6_43 Depth=1
	v_lshlrev_b64 v[9:10], 2, v[1:2]
	s_delay_alu instid0(VALU_DEP_1) | instskip(NEXT) | instid1(VALU_DEP_2)
	v_add_co_u32 v9, vcc_lo, s30, v9
	v_add_co_ci_u32_e32 v10, vcc_lo, s31, v10, vcc_lo
	global_load_b32 v31, v[9:10], off
	s_waitcnt vmcnt(0)
	v_fmac_f32_e32 v31, s26, v15
	global_store_b32 v[9:10], v31, off
	s_branch .LBB6_42
.LBB6_87:
	s_mov_b32 s0, exec_lo
	v_cmpx_eq_u32_e32 0xff, v0
	s_cbranch_execz .LBB6_89
; %bb.88:
	s_lshl_b64 s[0:1], s[24:25], 3
	v_dual_mov_b32 v0, 0 :: v_dual_mul_f32 v3, s26, v15
	s_waitcnt lgkmcnt(0)
	s_add_u32 s0, s12, s0
	s_addc_u32 s1, s13, s1
	s_lshl_b64 s[2:3], s[24:25], 2
	s_delay_alu instid0(SALU_CYCLE_1)
	s_add_u32 s2, s14, s2
	s_addc_u32 s3, s15, s3
	s_clause 0x1
	global_store_b64 v0, v[1:2], s[0:1] glc slc dlc
	global_store_b32 v0, v3, s[2:3] glc slc dlc
.LBB6_89:
	s_nop 0
	s_sendmsg sendmsg(MSG_DEALLOC_VGPRS)
	s_endpgm
	.section	.rodata,"a",@progbits
	.p2align	6, 0x0
	.amdhsa_kernel _ZN9rocsparseL26coomvn_aos_segmented_loopsILj256ElffffEEvlT0_NS_24const_host_device_scalarIT4_EEPKS1_PKT1_PKT2_PT3_PS1_PS3_21rocsparse_index_base_b
		.amdhsa_group_segment_fixed_size 3072
		.amdhsa_private_segment_fixed_size 0
		.amdhsa_kernarg_size 80
		.amdhsa_user_sgpr_count 15
		.amdhsa_user_sgpr_dispatch_ptr 0
		.amdhsa_user_sgpr_queue_ptr 0
		.amdhsa_user_sgpr_kernarg_segment_ptr 1
		.amdhsa_user_sgpr_dispatch_id 0
		.amdhsa_user_sgpr_private_segment_size 0
		.amdhsa_wavefront_size32 1
		.amdhsa_uses_dynamic_stack 0
		.amdhsa_enable_private_segment 0
		.amdhsa_system_sgpr_workgroup_id_x 1
		.amdhsa_system_sgpr_workgroup_id_y 0
		.amdhsa_system_sgpr_workgroup_id_z 0
		.amdhsa_system_sgpr_workgroup_info 0
		.amdhsa_system_vgpr_workitem_id 0
		.amdhsa_next_free_vgpr 35
		.amdhsa_next_free_sgpr 40
		.amdhsa_reserve_vcc 1
		.amdhsa_float_round_mode_32 0
		.amdhsa_float_round_mode_16_64 0
		.amdhsa_float_denorm_mode_32 3
		.amdhsa_float_denorm_mode_16_64 3
		.amdhsa_dx10_clamp 1
		.amdhsa_ieee_mode 1
		.amdhsa_fp16_overflow 0
		.amdhsa_workgroup_processor_mode 1
		.amdhsa_memory_ordered 1
		.amdhsa_forward_progress 0
		.amdhsa_shared_vgpr_count 0
		.amdhsa_exception_fp_ieee_invalid_op 0
		.amdhsa_exception_fp_denorm_src 0
		.amdhsa_exception_fp_ieee_div_zero 0
		.amdhsa_exception_fp_ieee_overflow 0
		.amdhsa_exception_fp_ieee_underflow 0
		.amdhsa_exception_fp_ieee_inexact 0
		.amdhsa_exception_int_div_zero 0
	.end_amdhsa_kernel
	.section	.text._ZN9rocsparseL26coomvn_aos_segmented_loopsILj256ElffffEEvlT0_NS_24const_host_device_scalarIT4_EEPKS1_PKT1_PKT2_PT3_PS1_PS3_21rocsparse_index_base_b,"axG",@progbits,_ZN9rocsparseL26coomvn_aos_segmented_loopsILj256ElffffEEvlT0_NS_24const_host_device_scalarIT4_EEPKS1_PKT1_PKT2_PT3_PS1_PS3_21rocsparse_index_base_b,comdat
.Lfunc_end6:
	.size	_ZN9rocsparseL26coomvn_aos_segmented_loopsILj256ElffffEEvlT0_NS_24const_host_device_scalarIT4_EEPKS1_PKT1_PKT2_PT3_PS1_PS3_21rocsparse_index_base_b, .Lfunc_end6-_ZN9rocsparseL26coomvn_aos_segmented_loopsILj256ElffffEEvlT0_NS_24const_host_device_scalarIT4_EEPKS1_PKT1_PKT2_PT3_PS1_PS3_21rocsparse_index_base_b
                                        ; -- End function
	.section	.AMDGPU.csdata,"",@progbits
; Kernel info:
; codeLenInByte = 3072
; NumSgprs: 42
; NumVgprs: 35
; ScratchSize: 0
; MemoryBound: 1
; FloatMode: 240
; IeeeMode: 1
; LDSByteSize: 3072 bytes/workgroup (compile time only)
; SGPRBlocks: 5
; VGPRBlocks: 4
; NumSGPRsForWavesPerEU: 42
; NumVGPRsForWavesPerEU: 35
; Occupancy: 16
; WaveLimiterHint : 1
; COMPUTE_PGM_RSRC2:SCRATCH_EN: 0
; COMPUTE_PGM_RSRC2:USER_SGPR: 15
; COMPUTE_PGM_RSRC2:TRAP_HANDLER: 0
; COMPUTE_PGM_RSRC2:TGID_X_EN: 1
; COMPUTE_PGM_RSRC2:TGID_Y_EN: 0
; COMPUTE_PGM_RSRC2:TGID_Z_EN: 0
; COMPUTE_PGM_RSRC2:TIDIG_COMP_CNT: 0
	.section	.text._ZN9rocsparseL29coomvn_segmented_loops_reduceILj256ElffEEvT0_NS_24const_host_device_scalarIT2_EEPKS1_PKS3_PT1_b,"axG",@progbits,_ZN9rocsparseL29coomvn_segmented_loops_reduceILj256ElffEEvT0_NS_24const_host_device_scalarIT2_EEPKS1_PKS3_PT1_b,comdat
	.globl	_ZN9rocsparseL29coomvn_segmented_loops_reduceILj256ElffEEvT0_NS_24const_host_device_scalarIT2_EEPKS1_PKS3_PT1_b ; -- Begin function _ZN9rocsparseL29coomvn_segmented_loops_reduceILj256ElffEEvT0_NS_24const_host_device_scalarIT2_EEPKS1_PKS3_PT1_b
	.p2align	8
	.type	_ZN9rocsparseL29coomvn_segmented_loops_reduceILj256ElffEEvT0_NS_24const_host_device_scalarIT2_EEPKS1_PKS3_PT1_b,@function
_ZN9rocsparseL29coomvn_segmented_loops_reduceILj256ElffEEvT0_NS_24const_host_device_scalarIT2_EEPKS1_PKS3_PT1_b: ; @_ZN9rocsparseL29coomvn_segmented_loops_reduceILj256ElffEEvT0_NS_24const_host_device_scalarIT2_EEPKS1_PKS3_PT1_b
; %bb.0:
	s_clause 0x1
	s_load_b32 s2, s[0:1], 0x28
	s_load_b128 s[12:15], s[0:1], 0x0
	s_waitcnt lgkmcnt(0)
	s_bitcmp1_b32 s2, 0
	s_cselect_b32 s2, -1, 0
	s_delay_alu instid0(SALU_CYCLE_1)
	s_and_b32 vcc_lo, exec_lo, s2
	s_cbranch_vccnz .LBB7_2
; %bb.1:
	s_load_b32 s14, s[14:15], 0x0
.LBB7_2:
	s_waitcnt lgkmcnt(0)
	v_cmp_eq_f32_e64 s2, s14, 0
	s_delay_alu instid0(VALU_DEP_1)
	s_and_b32 vcc_lo, exec_lo, s2
	s_cbranch_vccnz .LBB7_44
; %bb.3:
	v_cmp_lt_i64_e64 s2, s[12:13], 1
	s_delay_alu instid0(VALU_DEP_1)
	s_and_b32 vcc_lo, exec_lo, s2
	s_cbranch_vccnz .LBB7_44
; %bb.4:
	s_clause 0x1
	s_load_b128 s[16:19], s[0:1], 0x10
	s_load_b64 s[10:11], s[0:1], 0x20
	v_lshlrev_b32_e32 v9, 3, v0
	v_lshlrev_b32_e32 v3, 2, v0
	v_cmp_ne_u32_e64 s0, 0, v0
	v_cmp_lt_u32_e64 s1, 1, v0
	v_cmp_lt_u32_e64 s2, 3, v0
	v_add_nc_u32_e32 v11, -8, v9
	v_or_b32_e32 v10, 0x800, v3
	v_add_nc_u32_e32 v12, 0x7fc, v3
	v_add_nc_u32_e32 v14, 0x7f8, v3
	;; [unrolled: 1-line block ×8, first 2 shown]
	v_add_nc_u32_e32 v13, -16, v9
	v_subrev_nc_u32_e32 v15, 32, v9
	v_cmp_lt_u32_e64 s3, 7, v0
	s_waitcnt lgkmcnt(0)
	v_add_co_u32 v1, s9, s16, v9
	s_delay_alu instid0(VALU_DEP_1)
	v_add_co_ci_u32_e64 v2, null, s17, 0, s9
	v_add_co_u32 v3, s9, s18, v3
	v_subrev_nc_u32_e32 v17, 64, v9
	v_cmp_lt_u32_e64 s4, 15, v0
	v_add_nc_u32_e32 v19, 0xffffff80, v9
	v_cmp_lt_u32_e64 s5, 31, v0
	v_add_nc_u32_e32 v21, 0xffffff00, v9
	;; [unrolled: 2-line block ×4, first 2 shown]
	v_cmp_gt_u32_e64 s8, 0xff, v0
	v_add_co_ci_u32_e64 v4, null, s19, 0, s9
	s_mov_b64 s[14:15], 0
	s_branch .LBB7_6
.LBB7_5:                                ;   in Loop: Header=BB7_6 Depth=1
	s_or_b32 exec_lo, exec_lo, s9
	s_add_u32 s14, s14, 0x100
	s_addc_u32 s15, s15, 0
	v_add_co_u32 v1, vcc_lo, 0x800, v1
	v_cmp_lt_i64_e64 s9, s[14:15], s[12:13]
	v_add_co_ci_u32_e32 v2, vcc_lo, 0, v2, vcc_lo
	v_add_co_u32 v3, vcc_lo, 0x400, v3
	v_add_co_ci_u32_e32 v4, vcc_lo, 0, v4, vcc_lo
	s_delay_alu instid0(VALU_DEP_4)
	s_and_b32 vcc_lo, exec_lo, s9
	s_waitcnt_vscnt null, 0x0
	s_barrier
	buffer_gl0_inv
	s_cbranch_vccz .LBB7_44
.LBB7_6:                                ; =>This Inner Loop Header: Depth=1
	v_add_co_u32 v5, s9, v0, s14
	s_delay_alu instid0(VALU_DEP_1) | instskip(SKIP_1) | instid1(VALU_DEP_2)
	v_add_co_ci_u32_e64 v6, null, 0, s15, s9
	v_mov_b32_e32 v7, 0
	v_cmp_gt_i64_e32 vcc_lo, s[12:13], v[5:6]
	v_mov_b32_e32 v5, -1
	v_mov_b32_e32 v6, -1
	s_and_saveexec_b32 s9, vcc_lo
	s_cbranch_execz .LBB7_8
; %bb.7:                                ;   in Loop: Header=BB7_6 Depth=1
	global_load_b64 v[5:6], v[1:2], off
	global_load_b32 v7, v[3:4], off
.LBB7_8:                                ;   in Loop: Header=BB7_6 Depth=1
	s_or_b32 exec_lo, exec_lo, s9
	s_waitcnt vmcnt(1)
	ds_store_b64 v9, v[5:6]
	v_mov_b32_e32 v5, 0
	s_waitcnt vmcnt(0)
	ds_store_b32 v10, v7
	s_waitcnt lgkmcnt(0)
	s_barrier
	buffer_gl0_inv
	s_and_saveexec_b32 s9, s0
	s_cbranch_execz .LBB7_12
; %bb.9:                                ;   in Loop: Header=BB7_6 Depth=1
	ds_load_2addr_b64 v[5:8], v11 offset1:1
	s_waitcnt lgkmcnt(0)
	v_cmp_eq_u64_e32 vcc_lo, v[7:8], v[5:6]
	v_mov_b32_e32 v5, 0
	s_and_saveexec_b32 s16, vcc_lo
	s_cbranch_execz .LBB7_11
; %bb.10:                               ;   in Loop: Header=BB7_6 Depth=1
	ds_load_b32 v5, v12
.LBB7_11:                               ;   in Loop: Header=BB7_6 Depth=1
	s_or_b32 exec_lo, exec_lo, s16
.LBB7_12:                               ;   in Loop: Header=BB7_6 Depth=1
	s_delay_alu instid0(SALU_CYCLE_1)
	s_or_b32 exec_lo, exec_lo, s9
	s_waitcnt lgkmcnt(0)
	s_barrier
	buffer_gl0_inv
	ds_load_b32 v6, v10
	s_waitcnt lgkmcnt(0)
	v_dual_add_f32 v7, v5, v6 :: v_dual_mov_b32 v6, 0
	v_mov_b32_e32 v5, 0
	ds_store_b32 v10, v7
	s_waitcnt lgkmcnt(0)
	s_barrier
	buffer_gl0_inv
	s_and_saveexec_b32 s9, s1
	s_cbranch_execz .LBB7_16
; %bb.13:                               ;   in Loop: Header=BB7_6 Depth=1
	ds_load_b64 v[6:7], v9
	ds_load_b64 v[27:28], v13
	s_waitcnt lgkmcnt(0)
	v_cmp_eq_u64_e32 vcc_lo, v[6:7], v[27:28]
	v_mov_b32_e32 v6, 0
	s_and_saveexec_b32 s16, vcc_lo
	s_cbranch_execz .LBB7_15
; %bb.14:                               ;   in Loop: Header=BB7_6 Depth=1
	ds_load_b32 v6, v14
.LBB7_15:                               ;   in Loop: Header=BB7_6 Depth=1
	s_or_b32 exec_lo, exec_lo, s16
.LBB7_16:                               ;   in Loop: Header=BB7_6 Depth=1
	s_delay_alu instid0(SALU_CYCLE_1)
	s_or_b32 exec_lo, exec_lo, s9
	s_waitcnt lgkmcnt(0)
	s_barrier
	buffer_gl0_inv
	ds_load_b32 v7, v10
	s_waitcnt lgkmcnt(0)
	v_add_f32_e32 v6, v6, v7
	ds_store_b32 v10, v6
	s_waitcnt lgkmcnt(0)
	s_barrier
	buffer_gl0_inv
	s_and_saveexec_b32 s9, s2
	s_cbranch_execz .LBB7_20
; %bb.17:                               ;   in Loop: Header=BB7_6 Depth=1
	ds_load_b64 v[5:6], v9
	ds_load_b64 v[7:8], v15
	s_waitcnt lgkmcnt(0)
	v_cmp_eq_u64_e32 vcc_lo, v[5:6], v[7:8]
	v_mov_b32_e32 v5, 0
	s_and_saveexec_b32 s16, vcc_lo
	s_cbranch_execz .LBB7_19
; %bb.18:                               ;   in Loop: Header=BB7_6 Depth=1
	ds_load_b32 v5, v16
.LBB7_19:                               ;   in Loop: Header=BB7_6 Depth=1
	s_or_b32 exec_lo, exec_lo, s16
.LBB7_20:                               ;   in Loop: Header=BB7_6 Depth=1
	s_delay_alu instid0(SALU_CYCLE_1)
	s_or_b32 exec_lo, exec_lo, s9
	s_waitcnt lgkmcnt(0)
	s_barrier
	buffer_gl0_inv
	ds_load_b32 v6, v10
	s_waitcnt lgkmcnt(0)
	v_dual_add_f32 v7, v5, v6 :: v_dual_mov_b32 v6, 0
	v_mov_b32_e32 v5, 0
	ds_store_b32 v10, v7
	s_waitcnt lgkmcnt(0)
	s_barrier
	buffer_gl0_inv
	s_and_saveexec_b32 s9, s3
	s_cbranch_execz .LBB7_24
; %bb.21:                               ;   in Loop: Header=BB7_6 Depth=1
	ds_load_b64 v[6:7], v9
	ds_load_b64 v[27:28], v17
	s_waitcnt lgkmcnt(0)
	v_cmp_eq_u64_e32 vcc_lo, v[6:7], v[27:28]
	v_mov_b32_e32 v6, 0
	s_and_saveexec_b32 s16, vcc_lo
	s_cbranch_execz .LBB7_23
; %bb.22:                               ;   in Loop: Header=BB7_6 Depth=1
	ds_load_b32 v6, v18
.LBB7_23:                               ;   in Loop: Header=BB7_6 Depth=1
	s_or_b32 exec_lo, exec_lo, s16
.LBB7_24:                               ;   in Loop: Header=BB7_6 Depth=1
	s_delay_alu instid0(SALU_CYCLE_1)
	s_or_b32 exec_lo, exec_lo, s9
	s_waitcnt lgkmcnt(0)
	s_barrier
	buffer_gl0_inv
	ds_load_b32 v7, v10
	s_waitcnt lgkmcnt(0)
	v_add_f32_e32 v6, v6, v7
	ds_store_b32 v10, v6
	s_waitcnt lgkmcnt(0)
	s_barrier
	buffer_gl0_inv
	s_and_saveexec_b32 s9, s4
	s_cbranch_execz .LBB7_28
; %bb.25:                               ;   in Loop: Header=BB7_6 Depth=1
	ds_load_b64 v[5:6], v9
	ds_load_b64 v[7:8], v19
	s_waitcnt lgkmcnt(0)
	v_cmp_eq_u64_e32 vcc_lo, v[5:6], v[7:8]
	v_mov_b32_e32 v5, 0
	s_and_saveexec_b32 s16, vcc_lo
	s_cbranch_execz .LBB7_27
; %bb.26:                               ;   in Loop: Header=BB7_6 Depth=1
	ds_load_b32 v5, v20
.LBB7_27:                               ;   in Loop: Header=BB7_6 Depth=1
	s_or_b32 exec_lo, exec_lo, s16
.LBB7_28:                               ;   in Loop: Header=BB7_6 Depth=1
	;; [unrolled: 55-line block ×3, first 2 shown]
	s_delay_alu instid0(SALU_CYCLE_1)
	s_or_b32 exec_lo, exec_lo, s9
	s_waitcnt lgkmcnt(0)
	s_barrier
	buffer_gl0_inv
	ds_load_b32 v6, v10
	s_waitcnt lgkmcnt(0)
	v_dual_add_f32 v6, v5, v6 :: v_dual_mov_b32 v5, 0
	ds_store_b32 v10, v6
	s_waitcnt lgkmcnt(0)
	s_barrier
	buffer_gl0_inv
	s_and_saveexec_b32 s9, s7
	s_cbranch_execz .LBB7_40
; %bb.37:                               ;   in Loop: Header=BB7_6 Depth=1
	ds_load_b64 v[5:6], v9
	ds_load_b64 v[7:8], v25
	s_waitcnt lgkmcnt(0)
	v_cmp_eq_u64_e32 vcc_lo, v[5:6], v[7:8]
	v_mov_b32_e32 v5, 0
	s_and_saveexec_b32 s16, vcc_lo
	s_cbranch_execz .LBB7_39
; %bb.38:                               ;   in Loop: Header=BB7_6 Depth=1
	ds_load_b32 v5, v26
.LBB7_39:                               ;   in Loop: Header=BB7_6 Depth=1
	s_or_b32 exec_lo, exec_lo, s16
.LBB7_40:                               ;   in Loop: Header=BB7_6 Depth=1
	s_delay_alu instid0(SALU_CYCLE_1)
	s_or_b32 exec_lo, exec_lo, s9
	s_waitcnt lgkmcnt(0)
	s_barrier
	buffer_gl0_inv
	ds_load_b32 v6, v10
	v_mov_b32_e32 v7, -1
	s_waitcnt lgkmcnt(0)
	v_dual_mov_b32 v8, -1 :: v_dual_add_f32 v5, v5, v6
	ds_store_b32 v10, v5
	s_waitcnt lgkmcnt(0)
	s_barrier
	buffer_gl0_inv
	ds_load_b64 v[5:6], v9
	s_and_saveexec_b32 s9, s8
	s_cbranch_execz .LBB7_42
; %bb.41:                               ;   in Loop: Header=BB7_6 Depth=1
	ds_load_b64 v[7:8], v9 offset:8
.LBB7_42:                               ;   in Loop: Header=BB7_6 Depth=1
	s_or_b32 exec_lo, exec_lo, s9
	s_waitcnt lgkmcnt(0)
	v_cmp_ne_u64_e32 vcc_lo, v[5:6], v[7:8]
	v_cmp_lt_i64_e64 s9, -1, v[5:6]
	s_delay_alu instid0(VALU_DEP_1) | instskip(NEXT) | instid1(SALU_CYCLE_1)
	s_and_b32 s16, s9, vcc_lo
	s_and_saveexec_b32 s9, s16
	s_cbranch_execz .LBB7_5
; %bb.43:                               ;   in Loop: Header=BB7_6 Depth=1
	v_lshlrev_b64 v[5:6], 2, v[5:6]
	ds_load_b32 v8, v10
	v_add_co_u32 v5, vcc_lo, s10, v5
	v_add_co_ci_u32_e32 v6, vcc_lo, s11, v6, vcc_lo
	global_load_b32 v7, v[5:6], off
	s_waitcnt vmcnt(0) lgkmcnt(0)
	v_add_f32_e32 v7, v7, v8
	global_store_b32 v[5:6], v7, off
	s_branch .LBB7_5
.LBB7_44:
	s_endpgm
	.section	.rodata,"a",@progbits
	.p2align	6, 0x0
	.amdhsa_kernel _ZN9rocsparseL29coomvn_segmented_loops_reduceILj256ElffEEvT0_NS_24const_host_device_scalarIT2_EEPKS1_PKS3_PT1_b
		.amdhsa_group_segment_fixed_size 3072
		.amdhsa_private_segment_fixed_size 0
		.amdhsa_kernarg_size 44
		.amdhsa_user_sgpr_count 15
		.amdhsa_user_sgpr_dispatch_ptr 0
		.amdhsa_user_sgpr_queue_ptr 0
		.amdhsa_user_sgpr_kernarg_segment_ptr 1
		.amdhsa_user_sgpr_dispatch_id 0
		.amdhsa_user_sgpr_private_segment_size 0
		.amdhsa_wavefront_size32 1
		.amdhsa_uses_dynamic_stack 0
		.amdhsa_enable_private_segment 0
		.amdhsa_system_sgpr_workgroup_id_x 1
		.amdhsa_system_sgpr_workgroup_id_y 0
		.amdhsa_system_sgpr_workgroup_id_z 0
		.amdhsa_system_sgpr_workgroup_info 0
		.amdhsa_system_vgpr_workitem_id 0
		.amdhsa_next_free_vgpr 29
		.amdhsa_next_free_sgpr 20
		.amdhsa_reserve_vcc 1
		.amdhsa_float_round_mode_32 0
		.amdhsa_float_round_mode_16_64 0
		.amdhsa_float_denorm_mode_32 3
		.amdhsa_float_denorm_mode_16_64 3
		.amdhsa_dx10_clamp 1
		.amdhsa_ieee_mode 1
		.amdhsa_fp16_overflow 0
		.amdhsa_workgroup_processor_mode 1
		.amdhsa_memory_ordered 1
		.amdhsa_forward_progress 0
		.amdhsa_shared_vgpr_count 0
		.amdhsa_exception_fp_ieee_invalid_op 0
		.amdhsa_exception_fp_denorm_src 0
		.amdhsa_exception_fp_ieee_div_zero 0
		.amdhsa_exception_fp_ieee_overflow 0
		.amdhsa_exception_fp_ieee_underflow 0
		.amdhsa_exception_fp_ieee_inexact 0
		.amdhsa_exception_int_div_zero 0
	.end_amdhsa_kernel
	.section	.text._ZN9rocsparseL29coomvn_segmented_loops_reduceILj256ElffEEvT0_NS_24const_host_device_scalarIT2_EEPKS1_PKS3_PT1_b,"axG",@progbits,_ZN9rocsparseL29coomvn_segmented_loops_reduceILj256ElffEEvT0_NS_24const_host_device_scalarIT2_EEPKS1_PKS3_PT1_b,comdat
.Lfunc_end7:
	.size	_ZN9rocsparseL29coomvn_segmented_loops_reduceILj256ElffEEvT0_NS_24const_host_device_scalarIT2_EEPKS1_PKS3_PT1_b, .Lfunc_end7-_ZN9rocsparseL29coomvn_segmented_loops_reduceILj256ElffEEvT0_NS_24const_host_device_scalarIT2_EEPKS1_PKS3_PT1_b
                                        ; -- End function
	.section	.AMDGPU.csdata,"",@progbits
; Kernel info:
; codeLenInByte = 1672
; NumSgprs: 22
; NumVgprs: 29
; ScratchSize: 0
; MemoryBound: 0
; FloatMode: 240
; IeeeMode: 1
; LDSByteSize: 3072 bytes/workgroup (compile time only)
; SGPRBlocks: 2
; VGPRBlocks: 3
; NumSGPRsForWavesPerEU: 22
; NumVGPRsForWavesPerEU: 29
; Occupancy: 16
; WaveLimiterHint : 0
; COMPUTE_PGM_RSRC2:SCRATCH_EN: 0
; COMPUTE_PGM_RSRC2:USER_SGPR: 15
; COMPUTE_PGM_RSRC2:TRAP_HANDLER: 0
; COMPUTE_PGM_RSRC2:TGID_X_EN: 1
; COMPUTE_PGM_RSRC2:TGID_Y_EN: 0
; COMPUTE_PGM_RSRC2:TGID_Z_EN: 0
; COMPUTE_PGM_RSRC2:TIDIG_COMP_CNT: 0
	.section	.text._ZN9rocsparseL23coomvn_aos_atomic_loopsILj256ELj1EiddddEEvlNS_24const_host_device_scalarIT5_EEPKT1_PKT2_PKT3_PT4_21rocsparse_index_base_b,"axG",@progbits,_ZN9rocsparseL23coomvn_aos_atomic_loopsILj256ELj1EiddddEEvlNS_24const_host_device_scalarIT5_EEPKT1_PKT2_PKT3_PT4_21rocsparse_index_base_b,comdat
	.globl	_ZN9rocsparseL23coomvn_aos_atomic_loopsILj256ELj1EiddddEEvlNS_24const_host_device_scalarIT5_EEPKT1_PKT2_PKT3_PT4_21rocsparse_index_base_b ; -- Begin function _ZN9rocsparseL23coomvn_aos_atomic_loopsILj256ELj1EiddddEEvlNS_24const_host_device_scalarIT5_EEPKT1_PKT2_PKT3_PT4_21rocsparse_index_base_b
	.p2align	8
	.type	_ZN9rocsparseL23coomvn_aos_atomic_loopsILj256ELj1EiddddEEvlNS_24const_host_device_scalarIT5_EEPKT1_PKT2_PKT3_PT4_21rocsparse_index_base_b,@function
_ZN9rocsparseL23coomvn_aos_atomic_loopsILj256ELj1EiddddEEvlNS_24const_host_device_scalarIT5_EEPKT1_PKT2_PKT3_PT4_21rocsparse_index_base_b: ; @_ZN9rocsparseL23coomvn_aos_atomic_loopsILj256ELj1EiddddEEvlNS_24const_host_device_scalarIT5_EEPKT1_PKT2_PKT3_PT4_21rocsparse_index_base_b
; %bb.0:
	s_clause 0x1
	s_load_b64 s[2:3], s[0:1], 0x30
	s_load_b128 s[4:7], s[0:1], 0x0
	s_waitcnt lgkmcnt(0)
	s_bitcmp1_b32 s3, 0
	v_dual_mov_b32 v5, s6 :: v_dual_mov_b32 v6, s7
	s_cselect_b32 s3, -1, 0
	s_delay_alu instid0(SALU_CYCLE_1)
	s_and_b32 vcc_lo, exec_lo, s3
	s_cbranch_vccnz .LBB8_2
; %bb.1:
	v_dual_mov_b32 v1, s6 :: v_dual_mov_b32 v2, s7
	flat_load_b64 v[5:6], v[1:2]
.LBB8_2:
	s_mov_b32 s3, exec_lo
	s_waitcnt vmcnt(0) lgkmcnt(0)
	v_cmpx_neq_f64_e32 0, v[5:6]
	s_cbranch_execz .LBB8_44
; %bb.3:
	v_dual_mov_b32 v2, 0 :: v_dual_mov_b32 v7, 0
	v_lshl_or_b32 v1, s15, 8, v0
	v_dual_mov_b32 v8, 0 :: v_dual_mov_b32 v9, -1
	s_mov_b32 s3, exec_lo
	s_delay_alu instid0(VALU_DEP_2)
	v_cmpx_gt_i64_e64 s[4:5], v[1:2]
	s_cbranch_execz .LBB8_5
; %bb.4:
	s_clause 0x1
	s_load_b128 s[4:7], s[0:1], 0x10
	s_load_b64 s[8:9], s[0:1], 0x20
	v_lshlrev_b64 v[1:2], 3, v[1:2]
	s_waitcnt lgkmcnt(0)
	s_delay_alu instid0(VALU_DEP_1) | instskip(NEXT) | instid1(VALU_DEP_2)
	v_add_co_u32 v3, vcc_lo, s4, v1
	v_add_co_ci_u32_e32 v4, vcc_lo, s5, v2, vcc_lo
	v_add_co_u32 v1, vcc_lo, s6, v1
	v_add_co_ci_u32_e32 v2, vcc_lo, s7, v2, vcc_lo
	global_load_b64 v[3:4], v[3:4], off slc dlc
	s_waitcnt vmcnt(0)
	v_subrev_nc_u32_e32 v7, s2, v4
	v_subrev_nc_u32_e32 v9, s2, v3
	s_delay_alu instid0(VALU_DEP_2) | instskip(NEXT) | instid1(VALU_DEP_1)
	v_ashrrev_i32_e32 v8, 31, v7
	v_lshlrev_b64 v[7:8], 3, v[7:8]
	s_delay_alu instid0(VALU_DEP_1) | instskip(NEXT) | instid1(VALU_DEP_2)
	v_add_co_u32 v7, vcc_lo, s8, v7
	v_add_co_ci_u32_e32 v8, vcc_lo, s9, v8, vcc_lo
	global_load_b64 v[1:2], v[1:2], off slc dlc
	global_load_b64 v[7:8], v[7:8], off
	s_waitcnt vmcnt(0)
	v_mul_f64 v[7:8], v[1:2], v[7:8]
.LBB8_5:
	s_or_b32 exec_lo, exec_lo, s3
	v_lshlrev_b32_e32 v3, 2, v0
	v_lshlrev_b32_e32 v2, 3, v0
	s_mov_b32 s2, exec_lo
	ds_store_b32 v3, v9 offset:2048
	ds_store_b64 v2, v[7:8]
	v_or_b32_e32 v1, 0x800, v3
	s_waitcnt lgkmcnt(0)
	s_barrier
	buffer_gl0_inv
	v_cmpx_ne_u32_e32 0, v0
	s_cbranch_execz .LBB8_9
; %bb.6:
	v_add_nc_u32_e32 v3, -4, v1
	s_mov_b32 s3, exec_lo
	ds_load_b32 v3, v3
	s_waitcnt lgkmcnt(0)
	v_cmpx_eq_u32_e64 v9, v3
	s_cbranch_execz .LBB8_8
; %bb.7:
	v_add_nc_u32_e32 v3, -8, v2
	ds_load_b64 v[3:4], v3
	s_waitcnt lgkmcnt(0)
	v_add_f64 v[7:8], v[7:8], v[3:4]
.LBB8_8:
	s_or_b32 exec_lo, exec_lo, s3
.LBB8_9:
	s_delay_alu instid0(SALU_CYCLE_1) | instskip(NEXT) | instid1(SALU_CYCLE_1)
	s_or_b32 exec_lo, exec_lo, s2
	s_mov_b32 s2, exec_lo
	s_barrier
	buffer_gl0_inv
	ds_store_b64 v2, v[7:8]
	s_waitcnt lgkmcnt(0)
	s_barrier
	buffer_gl0_inv
	v_cmpx_lt_u32_e32 1, v0
	s_cbranch_execz .LBB8_13
; %bb.10:
	v_add_nc_u32_e32 v3, -8, v1
	s_mov_b32 s3, exec_lo
	ds_load_b32 v3, v3
	s_waitcnt lgkmcnt(0)
	v_cmpx_eq_u32_e64 v9, v3
	s_cbranch_execz .LBB8_12
; %bb.11:
	v_add_nc_u32_e32 v3, -16, v2
	ds_load_b64 v[3:4], v3
	s_waitcnt lgkmcnt(0)
	v_add_f64 v[7:8], v[7:8], v[3:4]
.LBB8_12:
	s_or_b32 exec_lo, exec_lo, s3
.LBB8_13:
	s_delay_alu instid0(SALU_CYCLE_1) | instskip(NEXT) | instid1(SALU_CYCLE_1)
	s_or_b32 exec_lo, exec_lo, s2
	s_mov_b32 s2, exec_lo
	s_barrier
	buffer_gl0_inv
	ds_store_b64 v2, v[7:8]
	s_waitcnt lgkmcnt(0)
	s_barrier
	buffer_gl0_inv
	v_cmpx_lt_u32_e32 3, v0
	s_cbranch_execz .LBB8_17
; %bb.14:
	v_add_nc_u32_e32 v3, -16, v1
	s_mov_b32 s3, exec_lo
	ds_load_b32 v3, v3
	s_waitcnt lgkmcnt(0)
	v_cmpx_eq_u32_e64 v9, v3
	s_cbranch_execz .LBB8_16
; %bb.15:
	v_subrev_nc_u32_e32 v3, 32, v2
	ds_load_b64 v[3:4], v3
	s_waitcnt lgkmcnt(0)
	v_add_f64 v[7:8], v[7:8], v[3:4]
.LBB8_16:
	s_or_b32 exec_lo, exec_lo, s3
.LBB8_17:
	s_delay_alu instid0(SALU_CYCLE_1) | instskip(NEXT) | instid1(SALU_CYCLE_1)
	s_or_b32 exec_lo, exec_lo, s2
	s_mov_b32 s2, exec_lo
	s_barrier
	buffer_gl0_inv
	ds_store_b64 v2, v[7:8]
	s_waitcnt lgkmcnt(0)
	s_barrier
	buffer_gl0_inv
	v_cmpx_lt_u32_e32 7, v0
	s_cbranch_execz .LBB8_21
; %bb.18:
	v_subrev_nc_u32_e32 v3, 32, v1
	s_mov_b32 s3, exec_lo
	ds_load_b32 v3, v3
	s_waitcnt lgkmcnt(0)
	v_cmpx_eq_u32_e64 v9, v3
	s_cbranch_execz .LBB8_20
; %bb.19:
	v_subrev_nc_u32_e32 v3, 64, v2
	ds_load_b64 v[3:4], v3
	s_waitcnt lgkmcnt(0)
	v_add_f64 v[7:8], v[7:8], v[3:4]
.LBB8_20:
	s_or_b32 exec_lo, exec_lo, s3
.LBB8_21:
	s_delay_alu instid0(SALU_CYCLE_1) | instskip(NEXT) | instid1(SALU_CYCLE_1)
	s_or_b32 exec_lo, exec_lo, s2
	s_mov_b32 s2, exec_lo
	s_barrier
	buffer_gl0_inv
	ds_store_b64 v2, v[7:8]
	s_waitcnt lgkmcnt(0)
	s_barrier
	buffer_gl0_inv
	v_cmpx_lt_u32_e32 15, v0
	s_cbranch_execz .LBB8_25
; %bb.22:
	v_subrev_nc_u32_e32 v3, 64, v1
	s_mov_b32 s3, exec_lo
	ds_load_b32 v3, v3
	s_waitcnt lgkmcnt(0)
	v_cmpx_eq_u32_e64 v9, v3
	s_cbranch_execz .LBB8_24
; %bb.23:
	v_add_nc_u32_e32 v3, 0xffffff80, v2
	ds_load_b64 v[3:4], v3
	s_waitcnt lgkmcnt(0)
	v_add_f64 v[7:8], v[7:8], v[3:4]
.LBB8_24:
	s_or_b32 exec_lo, exec_lo, s3
.LBB8_25:
	s_delay_alu instid0(SALU_CYCLE_1) | instskip(NEXT) | instid1(SALU_CYCLE_1)
	s_or_b32 exec_lo, exec_lo, s2
	s_mov_b32 s2, exec_lo
	s_barrier
	buffer_gl0_inv
	ds_store_b64 v2, v[7:8]
	s_waitcnt lgkmcnt(0)
	s_barrier
	buffer_gl0_inv
	v_cmpx_lt_u32_e32 31, v0
	s_cbranch_execz .LBB8_29
; %bb.26:
	v_add_nc_u32_e32 v3, 0xffffff80, v1
	s_mov_b32 s3, exec_lo
	ds_load_b32 v3, v3
	s_waitcnt lgkmcnt(0)
	v_cmpx_eq_u32_e64 v9, v3
	s_cbranch_execz .LBB8_28
; %bb.27:
	v_add_nc_u32_e32 v3, 0xffffff00, v2
	ds_load_b64 v[3:4], v3
	s_waitcnt lgkmcnt(0)
	v_add_f64 v[7:8], v[7:8], v[3:4]
.LBB8_28:
	s_or_b32 exec_lo, exec_lo, s3
.LBB8_29:
	s_delay_alu instid0(SALU_CYCLE_1) | instskip(NEXT) | instid1(SALU_CYCLE_1)
	s_or_b32 exec_lo, exec_lo, s2
	s_mov_b32 s2, exec_lo
	s_barrier
	buffer_gl0_inv
	ds_store_b64 v2, v[7:8]
	s_waitcnt lgkmcnt(0)
	s_barrier
	buffer_gl0_inv
	v_cmpx_lt_u32_e32 63, v0
	s_cbranch_execz .LBB8_33
; %bb.30:
	v_add_nc_u32_e32 v3, 0xffffff00, v1
	s_mov_b32 s3, exec_lo
	ds_load_b32 v3, v3
	s_waitcnt lgkmcnt(0)
	v_cmpx_eq_u32_e64 v9, v3
	s_cbranch_execz .LBB8_32
; %bb.31:
	v_add_nc_u32_e32 v3, 0xfffffe00, v2
	ds_load_b64 v[3:4], v3
	s_waitcnt lgkmcnt(0)
	v_add_f64 v[7:8], v[7:8], v[3:4]
.LBB8_32:
	s_or_b32 exec_lo, exec_lo, s3
.LBB8_33:
	s_delay_alu instid0(SALU_CYCLE_1)
	s_or_b32 exec_lo, exec_lo, s2
	s_load_b64 s[2:3], s[0:1], 0x28
	s_mov_b32 s0, exec_lo
	s_waitcnt lgkmcnt(0)
	s_barrier
	buffer_gl0_inv
	ds_store_b64 v2, v[7:8]
	s_waitcnt lgkmcnt(0)
	s_barrier
	buffer_gl0_inv
	v_cmpx_lt_u32_e32 0x7f, v0
	s_cbranch_execz .LBB8_37
; %bb.34:
	v_add_nc_u32_e32 v3, 0xfffffe00, v1
	s_mov_b32 s1, exec_lo
	ds_load_b32 v3, v3
	s_waitcnt lgkmcnt(0)
	v_cmpx_eq_u32_e64 v9, v3
	s_cbranch_execz .LBB8_36
; %bb.35:
	v_add_nc_u32_e32 v3, 0xfffffc00, v2
	ds_load_b64 v[3:4], v3
	s_waitcnt lgkmcnt(0)
	v_add_f64 v[7:8], v[7:8], v[3:4]
.LBB8_36:
	s_or_b32 exec_lo, exec_lo, s1
.LBB8_37:
	s_delay_alu instid0(SALU_CYCLE_1) | instskip(NEXT) | instid1(SALU_CYCLE_1)
	s_or_b32 exec_lo, exec_lo, s0
	s_mov_b32 s1, exec_lo
	s_barrier
	buffer_gl0_inv
	ds_store_b64 v2, v[7:8]
	s_waitcnt lgkmcnt(0)
	s_barrier
	buffer_gl0_inv
	v_cmpx_gt_u32_e32 0xff, v0
	s_cbranch_execz .LBB8_41
; %bb.38:
	ds_load_b32 v1, v1 offset:4
	v_cmp_lt_i32_e64 s0, -1, v9
	s_waitcnt lgkmcnt(0)
	v_cmp_ne_u32_e32 vcc_lo, v9, v1
	s_delay_alu instid0(VALU_DEP_2) | instskip(NEXT) | instid1(SALU_CYCLE_1)
	s_and_b32 s0, s0, vcc_lo
	s_and_b32 exec_lo, exec_lo, s0
	s_cbranch_execz .LBB8_41
; %bb.39:
	v_mov_b32_e32 v10, 0
	v_mul_f64 v[12:13], v[5:6], v[7:8]
	s_mov_b32 s0, 0
	s_delay_alu instid0(VALU_DEP_2) | instskip(NEXT) | instid1(VALU_DEP_1)
	v_lshlrev_b64 v[1:2], 3, v[9:10]
	v_add_co_u32 v10, vcc_lo, s2, v1
	s_delay_alu instid0(VALU_DEP_2)
	v_add_co_ci_u32_e32 v11, vcc_lo, s3, v2, vcc_lo
	global_load_b64 v[3:4], v[10:11], off
.LBB8_40:                               ; =>This Inner Loop Header: Depth=1
	s_waitcnt vmcnt(0)
	v_add_f64 v[1:2], v[3:4], v[12:13]
	global_atomic_cmpswap_b64 v[1:2], v[10:11], v[1:4], off glc
	s_waitcnt vmcnt(0)
	v_cmp_eq_u64_e32 vcc_lo, v[1:2], v[3:4]
	v_dual_mov_b32 v4, v2 :: v_dual_mov_b32 v3, v1
	s_or_b32 s0, vcc_lo, s0
	s_delay_alu instid0(SALU_CYCLE_1)
	s_and_not1_b32 exec_lo, exec_lo, s0
	s_cbranch_execnz .LBB8_40
.LBB8_41:
	s_or_b32 exec_lo, exec_lo, s1
	v_cmp_eq_u32_e32 vcc_lo, 0xff, v0
	v_cmp_lt_i32_e64 s0, -1, v9
	s_delay_alu instid0(VALU_DEP_1) | instskip(NEXT) | instid1(SALU_CYCLE_1)
	s_and_b32 s0, vcc_lo, s0
	s_and_b32 exec_lo, exec_lo, s0
	s_cbranch_execz .LBB8_44
; %bb.42:
	v_mov_b32_e32 v10, 0
	v_mul_f64 v[4:5], v[5:6], v[7:8]
	s_mov_b32 s0, 0
	s_delay_alu instid0(VALU_DEP_2) | instskip(NEXT) | instid1(VALU_DEP_1)
	v_lshlrev_b64 v[0:1], 3, v[9:10]
	v_add_co_u32 v9, vcc_lo, s2, v0
	s_delay_alu instid0(VALU_DEP_2)
	v_add_co_ci_u32_e32 v10, vcc_lo, s3, v1, vcc_lo
	global_load_b64 v[2:3], v[9:10], off
.LBB8_43:                               ; =>This Inner Loop Header: Depth=1
	s_waitcnt vmcnt(0)
	v_add_f64 v[0:1], v[2:3], v[4:5]
	global_atomic_cmpswap_b64 v[0:1], v[9:10], v[0:3], off glc
	s_waitcnt vmcnt(0)
	v_cmp_eq_u64_e32 vcc_lo, v[0:1], v[2:3]
	v_dual_mov_b32 v3, v1 :: v_dual_mov_b32 v2, v0
	s_or_b32 s0, vcc_lo, s0
	s_delay_alu instid0(SALU_CYCLE_1)
	s_and_not1_b32 exec_lo, exec_lo, s0
	s_cbranch_execnz .LBB8_43
.LBB8_44:
	s_endpgm
	.section	.rodata,"a",@progbits
	.p2align	6, 0x0
	.amdhsa_kernel _ZN9rocsparseL23coomvn_aos_atomic_loopsILj256ELj1EiddddEEvlNS_24const_host_device_scalarIT5_EEPKT1_PKT2_PKT3_PT4_21rocsparse_index_base_b
		.amdhsa_group_segment_fixed_size 3072
		.amdhsa_private_segment_fixed_size 0
		.amdhsa_kernarg_size 56
		.amdhsa_user_sgpr_count 15
		.amdhsa_user_sgpr_dispatch_ptr 0
		.amdhsa_user_sgpr_queue_ptr 0
		.amdhsa_user_sgpr_kernarg_segment_ptr 1
		.amdhsa_user_sgpr_dispatch_id 0
		.amdhsa_user_sgpr_private_segment_size 0
		.amdhsa_wavefront_size32 1
		.amdhsa_uses_dynamic_stack 0
		.amdhsa_enable_private_segment 0
		.amdhsa_system_sgpr_workgroup_id_x 1
		.amdhsa_system_sgpr_workgroup_id_y 0
		.amdhsa_system_sgpr_workgroup_id_z 0
		.amdhsa_system_sgpr_workgroup_info 0
		.amdhsa_system_vgpr_workitem_id 0
		.amdhsa_next_free_vgpr 14
		.amdhsa_next_free_sgpr 16
		.amdhsa_reserve_vcc 1
		.amdhsa_float_round_mode_32 0
		.amdhsa_float_round_mode_16_64 0
		.amdhsa_float_denorm_mode_32 3
		.amdhsa_float_denorm_mode_16_64 3
		.amdhsa_dx10_clamp 1
		.amdhsa_ieee_mode 1
		.amdhsa_fp16_overflow 0
		.amdhsa_workgroup_processor_mode 1
		.amdhsa_memory_ordered 1
		.amdhsa_forward_progress 0
		.amdhsa_shared_vgpr_count 0
		.amdhsa_exception_fp_ieee_invalid_op 0
		.amdhsa_exception_fp_denorm_src 0
		.amdhsa_exception_fp_ieee_div_zero 0
		.amdhsa_exception_fp_ieee_overflow 0
		.amdhsa_exception_fp_ieee_underflow 0
		.amdhsa_exception_fp_ieee_inexact 0
		.amdhsa_exception_int_div_zero 0
	.end_amdhsa_kernel
	.section	.text._ZN9rocsparseL23coomvn_aos_atomic_loopsILj256ELj1EiddddEEvlNS_24const_host_device_scalarIT5_EEPKT1_PKT2_PKT3_PT4_21rocsparse_index_base_b,"axG",@progbits,_ZN9rocsparseL23coomvn_aos_atomic_loopsILj256ELj1EiddddEEvlNS_24const_host_device_scalarIT5_EEPKT1_PKT2_PKT3_PT4_21rocsparse_index_base_b,comdat
.Lfunc_end8:
	.size	_ZN9rocsparseL23coomvn_aos_atomic_loopsILj256ELj1EiddddEEvlNS_24const_host_device_scalarIT5_EEPKT1_PKT2_PKT3_PT4_21rocsparse_index_base_b, .Lfunc_end8-_ZN9rocsparseL23coomvn_aos_atomic_loopsILj256ELj1EiddddEEvlNS_24const_host_device_scalarIT5_EEPKT1_PKT2_PKT3_PT4_21rocsparse_index_base_b
                                        ; -- End function
	.section	.AMDGPU.csdata,"",@progbits
; Kernel info:
; codeLenInByte = 1596
; NumSgprs: 18
; NumVgprs: 14
; ScratchSize: 0
; MemoryBound: 0
; FloatMode: 240
; IeeeMode: 1
; LDSByteSize: 3072 bytes/workgroup (compile time only)
; SGPRBlocks: 2
; VGPRBlocks: 1
; NumSGPRsForWavesPerEU: 18
; NumVGPRsForWavesPerEU: 14
; Occupancy: 16
; WaveLimiterHint : 1
; COMPUTE_PGM_RSRC2:SCRATCH_EN: 0
; COMPUTE_PGM_RSRC2:USER_SGPR: 15
; COMPUTE_PGM_RSRC2:TRAP_HANDLER: 0
; COMPUTE_PGM_RSRC2:TGID_X_EN: 1
; COMPUTE_PGM_RSRC2:TGID_Y_EN: 0
; COMPUTE_PGM_RSRC2:TGID_Z_EN: 0
; COMPUTE_PGM_RSRC2:TIDIG_COMP_CNT: 0
	.section	.text._ZN9rocsparseL17coomvt_aos_kernelILj1024EiddddEEv20rocsparse_operation_lNS_24const_host_device_scalarIT4_EEPKT0_PKT1_PKT2_PT3_21rocsparse_index_base_b,"axG",@progbits,_ZN9rocsparseL17coomvt_aos_kernelILj1024EiddddEEv20rocsparse_operation_lNS_24const_host_device_scalarIT4_EEPKT0_PKT1_PKT2_PT3_21rocsparse_index_base_b,comdat
	.globl	_ZN9rocsparseL17coomvt_aos_kernelILj1024EiddddEEv20rocsparse_operation_lNS_24const_host_device_scalarIT4_EEPKT0_PKT1_PKT2_PT3_21rocsparse_index_base_b ; -- Begin function _ZN9rocsparseL17coomvt_aos_kernelILj1024EiddddEEv20rocsparse_operation_lNS_24const_host_device_scalarIT4_EEPKT0_PKT1_PKT2_PT3_21rocsparse_index_base_b
	.p2align	8
	.type	_ZN9rocsparseL17coomvt_aos_kernelILj1024EiddddEEv20rocsparse_operation_lNS_24const_host_device_scalarIT4_EEPKT0_PKT1_PKT2_PT3_21rocsparse_index_base_b,@function
_ZN9rocsparseL17coomvt_aos_kernelILj1024EiddddEEv20rocsparse_operation_lNS_24const_host_device_scalarIT4_EEPKT0_PKT1_PKT2_PT3_21rocsparse_index_base_b: ; @_ZN9rocsparseL17coomvt_aos_kernelILj1024EiddddEEv20rocsparse_operation_lNS_24const_host_device_scalarIT4_EEPKT0_PKT1_PKT2_PT3_21rocsparse_index_base_b
; %bb.0:
	s_clause 0x1
	s_load_b64 s[2:3], s[0:1], 0x38
	s_load_b128 s[4:7], s[0:1], 0x8
	s_waitcnt lgkmcnt(0)
	s_bitcmp1_b32 s3, 0
	v_dual_mov_b32 v4, s6 :: v_dual_mov_b32 v5, s7
	s_cselect_b32 s3, -1, 0
	s_delay_alu instid0(SALU_CYCLE_1)
	s_and_b32 vcc_lo, exec_lo, s3
	s_cbranch_vccnz .LBB9_2
; %bb.1:
	v_dual_mov_b32 v1, s6 :: v_dual_mov_b32 v2, s7
	flat_load_b64 v[4:5], v[1:2]
.LBB9_2:
	s_mov_b32 s3, exec_lo
	s_waitcnt vmcnt(0) lgkmcnt(0)
	v_cmpx_neq_f64_e32 0, v[4:5]
	s_cbranch_execz .LBB9_6
; %bb.3:
	s_load_b32 s3, s[0:1], 0x4c
	s_waitcnt lgkmcnt(0)
	s_and_b32 s3, s3, 0xffff
	s_delay_alu instid0(SALU_CYCLE_1) | instskip(SKIP_1) | instid1(VALU_DEP_1)
	v_mad_u64_u32 v[1:2], null, s15, s3, v[0:1]
	v_mov_b32_e32 v2, 0
	v_cmp_gt_i64_e32 vcc_lo, s[4:5], v[1:2]
	s_and_b32 exec_lo, exec_lo, vcc_lo
	s_cbranch_execz .LBB9_6
; %bb.4:
	s_load_b256 s[4:11], s[0:1], 0x18
	v_lshlrev_b64 v[0:1], 3, v[1:2]
	s_mov_b32 s0, 0
	s_waitcnt lgkmcnt(0)
	s_delay_alu instid0(VALU_DEP_1) | instskip(NEXT) | instid1(VALU_DEP_2)
	v_add_co_u32 v2, vcc_lo, s4, v0
	v_add_co_ci_u32_e32 v3, vcc_lo, s5, v1, vcc_lo
	v_add_co_u32 v0, vcc_lo, s6, v0
	v_add_co_ci_u32_e32 v1, vcc_lo, s7, v1, vcc_lo
	global_load_b64 v[2:3], v[2:3], off
	global_load_b64 v[0:1], v[0:1], off
	s_waitcnt vmcnt(1)
	v_subrev_nc_u32_e32 v6, s2, v2
	v_subrev_nc_u32_e32 v2, s2, v3
	s_waitcnt vmcnt(0)
	v_mul_f64 v[0:1], v[4:5], v[0:1]
	s_delay_alu instid0(VALU_DEP_3) | instskip(NEXT) | instid1(VALU_DEP_3)
	v_ashrrev_i32_e32 v7, 31, v6
	v_ashrrev_i32_e32 v3, 31, v2
	s_delay_alu instid0(VALU_DEP_2) | instskip(NEXT) | instid1(VALU_DEP_2)
	v_lshlrev_b64 v[6:7], 3, v[6:7]
	v_lshlrev_b64 v[2:3], 3, v[2:3]
	s_delay_alu instid0(VALU_DEP_2) | instskip(NEXT) | instid1(VALU_DEP_3)
	v_add_co_u32 v6, vcc_lo, s8, v6
	v_add_co_ci_u32_e32 v7, vcc_lo, s9, v7, vcc_lo
	global_load_b64 v[8:9], v[6:7], off
	v_add_co_u32 v6, vcc_lo, s10, v2
	v_add_co_ci_u32_e32 v7, vcc_lo, s11, v3, vcc_lo
	global_load_b64 v[2:3], v[6:7], off
	s_waitcnt vmcnt(1)
	v_mul_f64 v[4:5], v[0:1], v[8:9]
.LBB9_5:                                ; =>This Inner Loop Header: Depth=1
	s_waitcnt vmcnt(0)
	s_delay_alu instid0(VALU_DEP_1)
	v_add_f64 v[0:1], v[2:3], v[4:5]
	global_atomic_cmpswap_b64 v[0:1], v[6:7], v[0:3], off glc
	s_waitcnt vmcnt(0)
	v_cmp_eq_u64_e32 vcc_lo, v[0:1], v[2:3]
	v_dual_mov_b32 v3, v1 :: v_dual_mov_b32 v2, v0
	s_or_b32 s0, vcc_lo, s0
	s_delay_alu instid0(SALU_CYCLE_1)
	s_and_not1_b32 exec_lo, exec_lo, s0
	s_cbranch_execnz .LBB9_5
.LBB9_6:
	s_endpgm
	.section	.rodata,"a",@progbits
	.p2align	6, 0x0
	.amdhsa_kernel _ZN9rocsparseL17coomvt_aos_kernelILj1024EiddddEEv20rocsparse_operation_lNS_24const_host_device_scalarIT4_EEPKT0_PKT1_PKT2_PT3_21rocsparse_index_base_b
		.amdhsa_group_segment_fixed_size 0
		.amdhsa_private_segment_fixed_size 0
		.amdhsa_kernarg_size 320
		.amdhsa_user_sgpr_count 15
		.amdhsa_user_sgpr_dispatch_ptr 0
		.amdhsa_user_sgpr_queue_ptr 0
		.amdhsa_user_sgpr_kernarg_segment_ptr 1
		.amdhsa_user_sgpr_dispatch_id 0
		.amdhsa_user_sgpr_private_segment_size 0
		.amdhsa_wavefront_size32 1
		.amdhsa_uses_dynamic_stack 0
		.amdhsa_enable_private_segment 0
		.amdhsa_system_sgpr_workgroup_id_x 1
		.amdhsa_system_sgpr_workgroup_id_y 0
		.amdhsa_system_sgpr_workgroup_id_z 0
		.amdhsa_system_sgpr_workgroup_info 0
		.amdhsa_system_vgpr_workitem_id 0
		.amdhsa_next_free_vgpr 10
		.amdhsa_next_free_sgpr 16
		.amdhsa_reserve_vcc 1
		.amdhsa_float_round_mode_32 0
		.amdhsa_float_round_mode_16_64 0
		.amdhsa_float_denorm_mode_32 3
		.amdhsa_float_denorm_mode_16_64 3
		.amdhsa_dx10_clamp 1
		.amdhsa_ieee_mode 1
		.amdhsa_fp16_overflow 0
		.amdhsa_workgroup_processor_mode 1
		.amdhsa_memory_ordered 1
		.amdhsa_forward_progress 0
		.amdhsa_shared_vgpr_count 0
		.amdhsa_exception_fp_ieee_invalid_op 0
		.amdhsa_exception_fp_denorm_src 0
		.amdhsa_exception_fp_ieee_div_zero 0
		.amdhsa_exception_fp_ieee_overflow 0
		.amdhsa_exception_fp_ieee_underflow 0
		.amdhsa_exception_fp_ieee_inexact 0
		.amdhsa_exception_int_div_zero 0
	.end_amdhsa_kernel
	.section	.text._ZN9rocsparseL17coomvt_aos_kernelILj1024EiddddEEv20rocsparse_operation_lNS_24const_host_device_scalarIT4_EEPKT0_PKT1_PKT2_PT3_21rocsparse_index_base_b,"axG",@progbits,_ZN9rocsparseL17coomvt_aos_kernelILj1024EiddddEEv20rocsparse_operation_lNS_24const_host_device_scalarIT4_EEPKT0_PKT1_PKT2_PT3_21rocsparse_index_base_b,comdat
.Lfunc_end9:
	.size	_ZN9rocsparseL17coomvt_aos_kernelILj1024EiddddEEv20rocsparse_operation_lNS_24const_host_device_scalarIT4_EEPKT0_PKT1_PKT2_PT3_21rocsparse_index_base_b, .Lfunc_end9-_ZN9rocsparseL17coomvt_aos_kernelILj1024EiddddEEv20rocsparse_operation_lNS_24const_host_device_scalarIT4_EEPKT0_PKT1_PKT2_PT3_21rocsparse_index_base_b
                                        ; -- End function
	.section	.AMDGPU.csdata,"",@progbits
; Kernel info:
; codeLenInByte = 372
; NumSgprs: 18
; NumVgprs: 10
; ScratchSize: 0
; MemoryBound: 0
; FloatMode: 240
; IeeeMode: 1
; LDSByteSize: 0 bytes/workgroup (compile time only)
; SGPRBlocks: 2
; VGPRBlocks: 1
; NumSGPRsForWavesPerEU: 18
; NumVGPRsForWavesPerEU: 10
; Occupancy: 16
; WaveLimiterHint : 1
; COMPUTE_PGM_RSRC2:SCRATCH_EN: 0
; COMPUTE_PGM_RSRC2:USER_SGPR: 15
; COMPUTE_PGM_RSRC2:TRAP_HANDLER: 0
; COMPUTE_PGM_RSRC2:TGID_X_EN: 1
; COMPUTE_PGM_RSRC2:TGID_Y_EN: 0
; COMPUTE_PGM_RSRC2:TGID_Z_EN: 0
; COMPUTE_PGM_RSRC2:TIDIG_COMP_CNT: 0
	.section	.text._ZN9rocsparseL26coomvn_aos_segmented_loopsILj256EiddddEEvlT0_NS_24const_host_device_scalarIT4_EEPKS1_PKT1_PKT2_PT3_PS1_PS3_21rocsparse_index_base_b,"axG",@progbits,_ZN9rocsparseL26coomvn_aos_segmented_loopsILj256EiddddEEvlT0_NS_24const_host_device_scalarIT4_EEPKS1_PKT1_PKT2_PT3_PS1_PS3_21rocsparse_index_base_b,comdat
	.globl	_ZN9rocsparseL26coomvn_aos_segmented_loopsILj256EiddddEEvlT0_NS_24const_host_device_scalarIT4_EEPKS1_PKT1_PKT2_PT3_PS1_PS3_21rocsparse_index_base_b ; -- Begin function _ZN9rocsparseL26coomvn_aos_segmented_loopsILj256EiddddEEvlT0_NS_24const_host_device_scalarIT4_EEPKS1_PKT1_PKT2_PT3_PS1_PS3_21rocsparse_index_base_b
	.p2align	8
	.type	_ZN9rocsparseL26coomvn_aos_segmented_loopsILj256EiddddEEvlT0_NS_24const_host_device_scalarIT4_EEPKS1_PKT1_PKT2_PT3_PS1_PS3_21rocsparse_index_base_b,@function
_ZN9rocsparseL26coomvn_aos_segmented_loopsILj256EiddddEEvlT0_NS_24const_host_device_scalarIT4_EEPKS1_PKT1_PKT2_PT3_PS1_PS3_21rocsparse_index_base_b: ; @_ZN9rocsparseL26coomvn_aos_segmented_loopsILj256EiddddEEvlT0_NS_24const_host_device_scalarIT4_EEPKS1_PKT1_PKT2_PT3_PS1_PS3_21rocsparse_index_base_b
; %bb.0:
	s_clause 0x1
	s_load_b64 s[22:23], s[0:1], 0x48
	s_load_b64 s[2:3], s[0:1], 0x10
	s_mov_b32 s20, s15
	s_waitcnt lgkmcnt(0)
	s_bitcmp1_b32 s23, 0
	v_dual_mov_b32 v1, s2 :: v_dual_mov_b32 v2, s3
	s_cselect_b32 s4, -1, 0
	s_delay_alu instid0(SALU_CYCLE_1)
	s_and_b32 vcc_lo, exec_lo, s4
	s_cbranch_vccnz .LBB10_2
; %bb.1:
	v_dual_mov_b32 v1, s2 :: v_dual_mov_b32 v2, s3
	flat_load_b64 v[1:2], v[1:2]
.LBB10_2:
	s_mov_b32 s2, exec_lo
	s_waitcnt vmcnt(0) lgkmcnt(0)
	v_cmpx_neq_f64_e32 0, v[1:2]
	s_cbranch_execz .LBB10_89
; %bb.3:
	s_clause 0x3
	s_load_b32 s21, s[0:1], 0x8
	s_load_b64 s[24:25], s[0:1], 0x0
	s_load_b128 s[16:19], s[0:1], 0x18
	s_load_b64 s[28:29], s[0:1], 0x28
	v_dual_mov_b32 v8, 0 :: v_dual_mov_b32 v5, 0
	v_dual_mov_b32 v6, 0 :: v_dual_mov_b32 v3, -1
	s_waitcnt lgkmcnt(0)
	s_mul_i32 s2, s20, s21
	s_delay_alu instid0(SALU_CYCLE_1) | instskip(NEXT) | instid1(VALU_DEP_1)
	v_lshl_or_b32 v7, s2, 8, v0
	v_cmp_gt_i64_e32 vcc_lo, s[24:25], v[7:8]
	v_lshlrev_b64 v[8:9], 3, v[7:8]
	s_and_saveexec_b32 s2, vcc_lo
	s_cbranch_execz .LBB10_5
; %bb.4:
	s_delay_alu instid0(VALU_DEP_1) | instskip(NEXT) | instid1(VALU_DEP_2)
	v_add_co_u32 v3, vcc_lo, s16, v8
	v_add_co_ci_u32_e32 v4, vcc_lo, s17, v9, vcc_lo
	v_add_co_u32 v10, vcc_lo, s18, v8
	v_add_co_ci_u32_e32 v11, vcc_lo, s19, v9, vcc_lo
	global_load_b64 v[3:4], v[3:4], off slc dlc
	s_ashr_i32 s23, s22, 31
	s_delay_alu instid0(SALU_CYCLE_1) | instskip(SKIP_3) | instid1(VALU_DEP_2)
	s_lshl_b64 s[4:5], s[22:23], 3
	s_waitcnt vmcnt(0)
	v_ashrrev_i32_e32 v5, 31, v4
	v_subrev_nc_u32_e32 v3, s22, v3
	v_lshlrev_b64 v[4:5], 3, v[4:5]
	s_delay_alu instid0(VALU_DEP_1) | instskip(NEXT) | instid1(VALU_DEP_2)
	v_add_co_u32 v4, vcc_lo, s28, v4
	v_add_co_ci_u32_e32 v5, vcc_lo, s29, v5, vcc_lo
	s_delay_alu instid0(VALU_DEP_2) | instskip(NEXT) | instid1(VALU_DEP_2)
	v_sub_co_u32 v4, vcc_lo, v4, s4
	v_subrev_co_ci_u32_e32 v5, vcc_lo, s5, v5, vcc_lo
	global_load_b64 v[10:11], v[10:11], off slc dlc
	global_load_b64 v[4:5], v[4:5], off
	s_waitcnt vmcnt(0)
	v_mul_f64 v[5:6], v[10:11], v[4:5]
.LBB10_5:
	s_or_b32 exec_lo, exec_lo, s2
	v_lshlrev_b32_e32 v4, 2, v0
	v_lshlrev_b32_e32 v15, 3, v0
	v_cmp_eq_u32_e32 vcc_lo, 0, v0
	v_cmp_ne_u32_e64 s2, 0, v0
	ds_store_b32 v4, v3 offset:2048
	ds_store_b64 v15, v[5:6]
	v_or_b32_e32 v14, 0x800, v4
	s_waitcnt lgkmcnt(0)
	s_barrier
	buffer_gl0_inv
	v_add_nc_u32_e32 v16, -4, v14
	s_and_saveexec_b32 s4, s2
	s_cbranch_execz .LBB10_9
; %bb.6:
	ds_load_b32 v4, v16
	s_mov_b32 s5, exec_lo
	s_waitcnt lgkmcnt(0)
	v_cmpx_eq_u32_e64 v3, v4
	s_cbranch_execz .LBB10_8
; %bb.7:
	v_add_nc_u32_e32 v4, -8, v15
	ds_load_b64 v[10:11], v4
	s_waitcnt lgkmcnt(0)
	v_add_f64 v[5:6], v[5:6], v[10:11]
.LBB10_8:
	s_or_b32 exec_lo, exec_lo, s5
.LBB10_9:
	s_delay_alu instid0(SALU_CYCLE_1)
	s_or_b32 exec_lo, exec_lo, s4
	v_cmp_lt_u32_e64 s3, 1, v0
	v_add_nc_u32_e32 v17, -8, v14
	s_barrier
	buffer_gl0_inv
	ds_store_b64 v15, v[5:6]
	s_waitcnt lgkmcnt(0)
	s_barrier
	buffer_gl0_inv
	s_and_saveexec_b32 s5, s3
	s_cbranch_execz .LBB10_13
; %bb.10:
	ds_load_b32 v4, v17
	s_mov_b32 s6, exec_lo
	s_waitcnt lgkmcnt(0)
	v_cmpx_eq_u32_e64 v3, v4
	s_cbranch_execz .LBB10_12
; %bb.11:
	v_add_nc_u32_e32 v4, -16, v15
	ds_load_b64 v[10:11], v4
	s_waitcnt lgkmcnt(0)
	v_add_f64 v[5:6], v[5:6], v[10:11]
.LBB10_12:
	s_or_b32 exec_lo, exec_lo, s6
.LBB10_13:
	s_delay_alu instid0(SALU_CYCLE_1)
	s_or_b32 exec_lo, exec_lo, s5
	v_cmp_lt_u32_e64 s4, 3, v0
	v_add_nc_u32_e32 v18, -16, v14
	s_barrier
	buffer_gl0_inv
	ds_store_b64 v15, v[5:6]
	s_waitcnt lgkmcnt(0)
	s_barrier
	buffer_gl0_inv
	s_and_saveexec_b32 s6, s4
	s_cbranch_execz .LBB10_17
; %bb.14:
	ds_load_b32 v4, v18
	s_mov_b32 s7, exec_lo
	s_waitcnt lgkmcnt(0)
	v_cmpx_eq_u32_e64 v3, v4
	s_cbranch_execz .LBB10_16
; %bb.15:
	v_subrev_nc_u32_e32 v4, 32, v15
	ds_load_b64 v[10:11], v4
	s_waitcnt lgkmcnt(0)
	v_add_f64 v[5:6], v[5:6], v[10:11]
.LBB10_16:
	s_or_b32 exec_lo, exec_lo, s7
.LBB10_17:
	s_delay_alu instid0(SALU_CYCLE_1)
	s_or_b32 exec_lo, exec_lo, s6
	v_cmp_lt_u32_e64 s5, 7, v0
	v_subrev_nc_u32_e32 v19, 32, v14
	s_barrier
	buffer_gl0_inv
	ds_store_b64 v15, v[5:6]
	s_waitcnt lgkmcnt(0)
	s_barrier
	buffer_gl0_inv
	s_and_saveexec_b32 s7, s5
	s_cbranch_execz .LBB10_21
; %bb.18:
	ds_load_b32 v4, v19
	s_mov_b32 s8, exec_lo
	s_waitcnt lgkmcnt(0)
	v_cmpx_eq_u32_e64 v3, v4
	s_cbranch_execz .LBB10_20
; %bb.19:
	v_subrev_nc_u32_e32 v4, 64, v15
	ds_load_b64 v[10:11], v4
	s_waitcnt lgkmcnt(0)
	v_add_f64 v[5:6], v[5:6], v[10:11]
.LBB10_20:
	s_or_b32 exec_lo, exec_lo, s8
.LBB10_21:
	s_delay_alu instid0(SALU_CYCLE_1)
	s_or_b32 exec_lo, exec_lo, s7
	v_cmp_lt_u32_e64 s6, 15, v0
	v_subrev_nc_u32_e32 v20, 64, v14
	s_barrier
	buffer_gl0_inv
	ds_store_b64 v15, v[5:6]
	s_waitcnt lgkmcnt(0)
	s_barrier
	buffer_gl0_inv
	s_and_saveexec_b32 s8, s6
	s_cbranch_execz .LBB10_25
; %bb.22:
	ds_load_b32 v4, v20
	s_mov_b32 s9, exec_lo
	s_waitcnt lgkmcnt(0)
	v_cmpx_eq_u32_e64 v3, v4
	s_cbranch_execz .LBB10_24
; %bb.23:
	v_add_nc_u32_e32 v4, 0xffffff80, v15
	ds_load_b64 v[10:11], v4
	s_waitcnt lgkmcnt(0)
	v_add_f64 v[5:6], v[5:6], v[10:11]
.LBB10_24:
	s_or_b32 exec_lo, exec_lo, s9
.LBB10_25:
	s_delay_alu instid0(SALU_CYCLE_1)
	s_or_b32 exec_lo, exec_lo, s8
	v_cmp_lt_u32_e64 s7, 31, v0
	v_add_nc_u32_e32 v21, 0xffffff80, v14
	s_barrier
	buffer_gl0_inv
	ds_store_b64 v15, v[5:6]
	s_waitcnt lgkmcnt(0)
	s_barrier
	buffer_gl0_inv
	s_and_saveexec_b32 s9, s7
	s_cbranch_execz .LBB10_29
; %bb.26:
	ds_load_b32 v4, v21
	s_mov_b32 s10, exec_lo
	s_waitcnt lgkmcnt(0)
	v_cmpx_eq_u32_e64 v3, v4
	s_cbranch_execz .LBB10_28
; %bb.27:
	v_add_nc_u32_e32 v4, 0xffffff00, v15
	ds_load_b64 v[10:11], v4
	s_waitcnt lgkmcnt(0)
	v_add_f64 v[5:6], v[5:6], v[10:11]
.LBB10_28:
	s_or_b32 exec_lo, exec_lo, s10
.LBB10_29:
	s_delay_alu instid0(SALU_CYCLE_1)
	s_or_b32 exec_lo, exec_lo, s9
	v_cmp_lt_u32_e64 s8, 63, v0
	v_add_nc_u32_e32 v22, 0xffffff00, v14
	s_barrier
	buffer_gl0_inv
	ds_store_b64 v15, v[5:6]
	s_waitcnt lgkmcnt(0)
	s_barrier
	buffer_gl0_inv
	s_and_saveexec_b32 s10, s8
	s_cbranch_execz .LBB10_33
; %bb.30:
	ds_load_b32 v4, v22
	s_mov_b32 s11, exec_lo
	s_waitcnt lgkmcnt(0)
	v_cmpx_eq_u32_e64 v3, v4
	s_cbranch_execz .LBB10_32
; %bb.31:
	v_add_nc_u32_e32 v4, 0xfffffe00, v15
	ds_load_b64 v[10:11], v4
	s_waitcnt lgkmcnt(0)
	v_add_f64 v[5:6], v[5:6], v[10:11]
.LBB10_32:
	s_or_b32 exec_lo, exec_lo, s11
.LBB10_33:
	s_delay_alu instid0(SALU_CYCLE_1)
	s_or_b32 exec_lo, exec_lo, s10
	s_load_b64 s[26:27], s[0:1], 0x30
	v_cmp_lt_u32_e64 s9, 0x7f, v0
	v_add_nc_u32_e32 v23, 0xfffffe00, v14
	s_waitcnt lgkmcnt(0)
	s_barrier
	buffer_gl0_inv
	ds_store_b64 v15, v[5:6]
	s_waitcnt lgkmcnt(0)
	s_barrier
	buffer_gl0_inv
	s_and_saveexec_b32 s11, s9
	s_cbranch_execz .LBB10_37
; %bb.34:
	ds_load_b32 v4, v23
	s_mov_b32 s12, exec_lo
	s_waitcnt lgkmcnt(0)
	v_cmpx_eq_u32_e64 v3, v4
	s_cbranch_execz .LBB10_36
; %bb.35:
	v_add_nc_u32_e32 v4, 0xfffffc00, v15
	ds_load_b64 v[10:11], v4
	s_waitcnt lgkmcnt(0)
	v_add_f64 v[5:6], v[5:6], v[10:11]
.LBB10_36:
	s_or_b32 exec_lo, exec_lo, s12
.LBB10_37:
	s_delay_alu instid0(SALU_CYCLE_1)
	s_or_b32 exec_lo, exec_lo, s11
	v_cmp_gt_u32_e64 s10, 0xff, v0
	s_barrier
	buffer_gl0_inv
	ds_store_b64 v15, v[5:6]
	s_waitcnt lgkmcnt(0)
	s_barrier
	buffer_gl0_inv
	s_and_saveexec_b32 s13, s10
	s_cbranch_execz .LBB10_40
; %bb.38:
	ds_load_b32 v4, v14 offset:4
	v_cmp_lt_i32_e64 s12, -1, v3
	s_waitcnt lgkmcnt(0)
	v_cmp_ne_u32_e64 s11, v3, v4
	s_delay_alu instid0(VALU_DEP_1) | instskip(NEXT) | instid1(SALU_CYCLE_1)
	s_and_b32 s11, s12, s11
	s_and_b32 exec_lo, exec_lo, s11
	s_cbranch_execz .LBB10_40
; %bb.39:
	v_mov_b32_e32 v4, 0
	s_delay_alu instid0(VALU_DEP_1) | instskip(NEXT) | instid1(VALU_DEP_1)
	v_lshlrev_b64 v[10:11], 3, v[3:4]
	v_add_co_u32 v10, s11, s26, v10
	s_delay_alu instid0(VALU_DEP_1)
	v_add_co_ci_u32_e64 v11, s11, s27, v11, s11
	global_load_b64 v[12:13], v[10:11], off
	s_waitcnt vmcnt(0)
	v_fma_f64 v[12:13], v[1:2], v[5:6], v[12:13]
	global_store_b64 v[10:11], v[12:13], off
.LBB10_40:
	s_or_b32 exec_lo, exec_lo, s13
	s_load_b128 s[12:15], s[0:1], 0x38
	s_cmp_lt_i32 s21, 2
	s_cbranch_scc1 .LBB10_87
; %bb.41:
	s_ashr_i32 s23, s22, 31
	v_add_nc_u32_e32 v24, -8, v15
	s_lshl_b64 s[0:1], s[22:23], 3
	v_add_nc_u32_e32 v25, -16, v15
	s_sub_u32 s11, s28, s0
	v_add_co_u32 v3, s0, 0x800, v8
	s_delay_alu instid0(VALU_DEP_1) | instskip(SKIP_1) | instid1(VALU_DEP_3)
	v_add_co_ci_u32_e64 v4, s0, 0, v9, s0
	v_subrev_nc_u32_e32 v26, 32, v15
	v_add_co_u32 v8, s0, s18, v3
	s_delay_alu instid0(VALU_DEP_1) | instskip(SKIP_1) | instid1(VALU_DEP_1)
	v_add_co_ci_u32_e64 v9, s0, s19, v4, s0
	v_add_co_u32 v10, s0, s16, v3
	v_add_co_ci_u32_e64 v11, s0, s17, v4, s0
	v_mov_b32_e32 v4, 0
	v_add_co_u32 v12, s0, 0x100, v7
	v_subrev_nc_u32_e32 v27, 64, v15
	v_add_nc_u32_e32 v28, 0xffffff80, v15
	v_add_nc_u32_e32 v29, 0xffffff00, v15
	;; [unrolled: 1-line block ×4, first 2 shown]
	v_add_co_ci_u32_e64 v13, null, 0, 0, s0
	s_subb_u32 s18, s29, s1
	s_add_i32 s19, s21, -1
	s_mov_b32 s17, 0
	s_branch .LBB10_43
.LBB10_42:                              ;   in Loop: Header=BB10_43 Depth=1
	s_or_b32 exec_lo, exec_lo, s16
	v_add_co_u32 v8, s0, 0x800, v8
	s_delay_alu instid0(VALU_DEP_1) | instskip(SKIP_1) | instid1(VALU_DEP_1)
	v_add_co_ci_u32_e64 v9, s0, 0, v9, s0
	v_add_co_u32 v10, s0, 0x800, v10
	v_add_co_ci_u32_e64 v11, s0, 0, v11, s0
	v_add_co_u32 v12, s0, 0x100, v12
	s_delay_alu instid0(VALU_DEP_1) | instskip(SKIP_1) | instid1(SALU_CYCLE_1)
	v_add_co_ci_u32_e64 v13, s0, 0, v13, s0
	s_add_i32 s19, s19, -1
	s_cmp_eq_u32 s19, 0
	s_cbranch_scc1 .LBB10_87
.LBB10_43:                              ; =>This Inner Loop Header: Depth=1
	v_mov_b32_e32 v5, 0
	v_dual_mov_b32 v6, 0 :: v_dual_mov_b32 v3, -1
	s_mov_b32 s1, exec_lo
	v_cmpx_gt_i64_e64 s[24:25], v[12:13]
	s_cbranch_execz .LBB10_45
; %bb.44:                               ;   in Loop: Header=BB10_43 Depth=1
	global_load_b64 v[32:33], v[10:11], off slc dlc
	s_waitcnt vmcnt(0)
	v_ashrrev_i32_e32 v6, 31, v33
	v_mov_b32_e32 v5, v33
	v_subrev_nc_u32_e32 v3, s22, v32
	s_delay_alu instid0(VALU_DEP_2) | instskip(NEXT) | instid1(VALU_DEP_1)
	v_lshlrev_b64 v[5:6], 3, v[5:6]
	v_add_co_u32 v5, s0, s11, v5
	s_delay_alu instid0(VALU_DEP_1)
	v_add_co_ci_u32_e64 v6, s0, s18, v6, s0
	global_load_b64 v[33:34], v[8:9], off slc dlc
	global_load_b64 v[5:6], v[5:6], off
	s_waitcnt vmcnt(0)
	v_mul_f64 v[5:6], v[33:34], v[5:6]
.LBB10_45:                              ;   in Loop: Header=BB10_43 Depth=1
	s_or_b32 exec_lo, exec_lo, s1
	s_and_saveexec_b32 s1, vcc_lo
	s_cbranch_execz .LBB10_52
; %bb.46:                               ;   in Loop: Header=BB10_43 Depth=1
	ds_load_b32 v7, v4 offset:3068
	s_waitcnt lgkmcnt(0)
	v_readfirstlane_b32 s16, v7
	v_cmp_ne_u32_e64 s0, v3, v7
	s_delay_alu instid0(VALU_DEP_1) | instskip(NEXT) | instid1(SALU_CYCLE_1)
	s_and_saveexec_b32 s21, s0
	s_xor_b32 s0, exec_lo, s21
	s_cbranch_execz .LBB10_49
; %bb.47:                               ;   in Loop: Header=BB10_43 Depth=1
	s_cmp_lt_i32 s16, 0
	s_cbranch_scc1 .LBB10_49
; %bb.48:                               ;   in Loop: Header=BB10_43 Depth=1
	s_lshl_b64 s[28:29], s[16:17], 3
	ds_load_b64 v[34:35], v4 offset:2040
	s_add_u32 s28, s26, s28
	s_addc_u32 s29, s27, s29
	global_load_b64 v[32:33], v4, s[28:29]
	s_waitcnt vmcnt(0) lgkmcnt(0)
	v_fma_f64 v[32:33], v[1:2], v[34:35], v[32:33]
	global_store_b64 v4, v[32:33], s[28:29]
.LBB10_49:                              ;   in Loop: Header=BB10_43 Depth=1
	s_and_not1_saveexec_b32 s0, s0
	s_cbranch_execz .LBB10_51
; %bb.50:                               ;   in Loop: Header=BB10_43 Depth=1
	ds_load_b64 v[32:33], v4 offset:2040
	s_waitcnt lgkmcnt(0)
	v_add_f64 v[5:6], v[5:6], v[32:33]
.LBB10_51:                              ;   in Loop: Header=BB10_43 Depth=1
	s_or_b32 exec_lo, exec_lo, s0
.LBB10_52:                              ;   in Loop: Header=BB10_43 Depth=1
	s_delay_alu instid0(SALU_CYCLE_1)
	s_or_b32 exec_lo, exec_lo, s1
	s_waitcnt lgkmcnt(0)
	s_waitcnt_vscnt null, 0x0
	s_barrier
	buffer_gl0_inv
	ds_store_b32 v14, v3
	ds_store_b64 v15, v[5:6]
	s_waitcnt lgkmcnt(0)
	s_barrier
	buffer_gl0_inv
	s_and_saveexec_b32 s1, s2
	s_cbranch_execz .LBB10_56
; %bb.53:                               ;   in Loop: Header=BB10_43 Depth=1
	ds_load_b32 v7, v16
	s_mov_b32 s16, exec_lo
	s_waitcnt lgkmcnt(0)
	v_cmpx_eq_u32_e64 v3, v7
	s_cbranch_execz .LBB10_55
; %bb.54:                               ;   in Loop: Header=BB10_43 Depth=1
	ds_load_b64 v[32:33], v24
	s_waitcnt lgkmcnt(0)
	v_add_f64 v[5:6], v[5:6], v[32:33]
.LBB10_55:                              ;   in Loop: Header=BB10_43 Depth=1
	s_or_b32 exec_lo, exec_lo, s16
.LBB10_56:                              ;   in Loop: Header=BB10_43 Depth=1
	s_delay_alu instid0(SALU_CYCLE_1)
	s_or_b32 exec_lo, exec_lo, s1
	s_barrier
	buffer_gl0_inv
	ds_store_b64 v15, v[5:6]
	s_waitcnt lgkmcnt(0)
	s_barrier
	buffer_gl0_inv
	s_and_saveexec_b32 s1, s3
	s_cbranch_execz .LBB10_60
; %bb.57:                               ;   in Loop: Header=BB10_43 Depth=1
	ds_load_b32 v7, v17
	s_mov_b32 s16, exec_lo
	s_waitcnt lgkmcnt(0)
	v_cmpx_eq_u32_e64 v3, v7
	s_cbranch_execz .LBB10_59
; %bb.58:                               ;   in Loop: Header=BB10_43 Depth=1
	ds_load_b64 v[32:33], v25
	s_waitcnt lgkmcnt(0)
	v_add_f64 v[5:6], v[5:6], v[32:33]
.LBB10_59:                              ;   in Loop: Header=BB10_43 Depth=1
	s_or_b32 exec_lo, exec_lo, s16
.LBB10_60:                              ;   in Loop: Header=BB10_43 Depth=1
	s_delay_alu instid0(SALU_CYCLE_1)
	s_or_b32 exec_lo, exec_lo, s1
	s_barrier
	buffer_gl0_inv
	;; [unrolled: 23-line block ×8, first 2 shown]
	ds_store_b64 v15, v[5:6]
	s_waitcnt lgkmcnt(0)
	s_barrier
	buffer_gl0_inv
	s_and_saveexec_b32 s16, s10
	s_cbranch_execz .LBB10_42
; %bb.85:                               ;   in Loop: Header=BB10_43 Depth=1
	ds_load_b32 v7, v14 offset:4
	v_cmp_lt_i32_e64 s1, -1, v3
	s_waitcnt lgkmcnt(0)
	v_cmp_ne_u32_e64 s0, v3, v7
	s_delay_alu instid0(VALU_DEP_1) | instskip(NEXT) | instid1(SALU_CYCLE_1)
	s_and_b32 s0, s1, s0
	s_and_b32 exec_lo, exec_lo, s0
	s_cbranch_execz .LBB10_42
; %bb.86:                               ;   in Loop: Header=BB10_43 Depth=1
	v_lshlrev_b64 v[32:33], 3, v[3:4]
	s_delay_alu instid0(VALU_DEP_1) | instskip(NEXT) | instid1(VALU_DEP_1)
	v_add_co_u32 v32, s0, s26, v32
	v_add_co_ci_u32_e64 v33, s0, s27, v33, s0
	global_load_b64 v[34:35], v[32:33], off
	s_waitcnt vmcnt(0)
	v_fma_f64 v[34:35], v[1:2], v[5:6], v[34:35]
	global_store_b64 v[32:33], v[34:35], off
	s_branch .LBB10_42
.LBB10_87:
	v_cmp_eq_u32_e32 vcc_lo, 0xff, v0
	s_and_b32 exec_lo, exec_lo, vcc_lo
	s_cbranch_execz .LBB10_89
; %bb.88:
	v_mul_f64 v[0:1], v[1:2], v[5:6]
	s_mov_b32 s21, 0
	v_mov_b32_e32 v2, 0
	s_lshl_b64 s[0:1], s[20:21], 2
	s_waitcnt lgkmcnt(0)
	s_add_u32 s0, s12, s0
	s_addc_u32 s1, s13, s1
	s_lshl_b64 s[2:3], s[20:21], 3
	s_delay_alu instid0(SALU_CYCLE_1)
	s_add_u32 s2, s14, s2
	s_addc_u32 s3, s15, s3
	s_clause 0x1
	global_store_b32 v2, v3, s[0:1] glc slc dlc
	global_store_b64 v2, v[0:1], s[2:3] glc slc dlc
.LBB10_89:
	s_nop 0
	s_sendmsg sendmsg(MSG_DEALLOC_VGPRS)
	s_endpgm
	.section	.rodata,"a",@progbits
	.p2align	6, 0x0
	.amdhsa_kernel _ZN9rocsparseL26coomvn_aos_segmented_loopsILj256EiddddEEvlT0_NS_24const_host_device_scalarIT4_EEPKS1_PKT1_PKT2_PT3_PS1_PS3_21rocsparse_index_base_b
		.amdhsa_group_segment_fixed_size 3072
		.amdhsa_private_segment_fixed_size 0
		.amdhsa_kernarg_size 80
		.amdhsa_user_sgpr_count 15
		.amdhsa_user_sgpr_dispatch_ptr 0
		.amdhsa_user_sgpr_queue_ptr 0
		.amdhsa_user_sgpr_kernarg_segment_ptr 1
		.amdhsa_user_sgpr_dispatch_id 0
		.amdhsa_user_sgpr_private_segment_size 0
		.amdhsa_wavefront_size32 1
		.amdhsa_uses_dynamic_stack 0
		.amdhsa_enable_private_segment 0
		.amdhsa_system_sgpr_workgroup_id_x 1
		.amdhsa_system_sgpr_workgroup_id_y 0
		.amdhsa_system_sgpr_workgroup_id_z 0
		.amdhsa_system_sgpr_workgroup_info 0
		.amdhsa_system_vgpr_workitem_id 0
		.amdhsa_next_free_vgpr 36
		.amdhsa_next_free_sgpr 30
		.amdhsa_reserve_vcc 1
		.amdhsa_float_round_mode_32 0
		.amdhsa_float_round_mode_16_64 0
		.amdhsa_float_denorm_mode_32 3
		.amdhsa_float_denorm_mode_16_64 3
		.amdhsa_dx10_clamp 1
		.amdhsa_ieee_mode 1
		.amdhsa_fp16_overflow 0
		.amdhsa_workgroup_processor_mode 1
		.amdhsa_memory_ordered 1
		.amdhsa_forward_progress 0
		.amdhsa_shared_vgpr_count 0
		.amdhsa_exception_fp_ieee_invalid_op 0
		.amdhsa_exception_fp_denorm_src 0
		.amdhsa_exception_fp_ieee_div_zero 0
		.amdhsa_exception_fp_ieee_overflow 0
		.amdhsa_exception_fp_ieee_underflow 0
		.amdhsa_exception_fp_ieee_inexact 0
		.amdhsa_exception_int_div_zero 0
	.end_amdhsa_kernel
	.section	.text._ZN9rocsparseL26coomvn_aos_segmented_loopsILj256EiddddEEvlT0_NS_24const_host_device_scalarIT4_EEPKS1_PKT1_PKT2_PT3_PS1_PS3_21rocsparse_index_base_b,"axG",@progbits,_ZN9rocsparseL26coomvn_aos_segmented_loopsILj256EiddddEEvlT0_NS_24const_host_device_scalarIT4_EEPKS1_PKT1_PKT2_PT3_PS1_PS3_21rocsparse_index_base_b,comdat
.Lfunc_end10:
	.size	_ZN9rocsparseL26coomvn_aos_segmented_loopsILj256EiddddEEvlT0_NS_24const_host_device_scalarIT4_EEPKS1_PKT1_PKT2_PT3_PS1_PS3_21rocsparse_index_base_b, .Lfunc_end10-_ZN9rocsparseL26coomvn_aos_segmented_loopsILj256EiddddEEvlT0_NS_24const_host_device_scalarIT4_EEPKS1_PKT1_PKT2_PT3_PS1_PS3_21rocsparse_index_base_b
                                        ; -- End function
	.section	.AMDGPU.csdata,"",@progbits
; Kernel info:
; codeLenInByte = 3112
; NumSgprs: 32
; NumVgprs: 36
; ScratchSize: 0
; MemoryBound: 1
; FloatMode: 240
; IeeeMode: 1
; LDSByteSize: 3072 bytes/workgroup (compile time only)
; SGPRBlocks: 3
; VGPRBlocks: 4
; NumSGPRsForWavesPerEU: 32
; NumVGPRsForWavesPerEU: 36
; Occupancy: 16
; WaveLimiterHint : 1
; COMPUTE_PGM_RSRC2:SCRATCH_EN: 0
; COMPUTE_PGM_RSRC2:USER_SGPR: 15
; COMPUTE_PGM_RSRC2:TRAP_HANDLER: 0
; COMPUTE_PGM_RSRC2:TGID_X_EN: 1
; COMPUTE_PGM_RSRC2:TGID_Y_EN: 0
; COMPUTE_PGM_RSRC2:TGID_Z_EN: 0
; COMPUTE_PGM_RSRC2:TIDIG_COMP_CNT: 0
	.section	.text._ZN9rocsparseL29coomvn_segmented_loops_reduceILj256EiddEEvT0_NS_24const_host_device_scalarIT2_EEPKS1_PKS3_PT1_b,"axG",@progbits,_ZN9rocsparseL29coomvn_segmented_loops_reduceILj256EiddEEvT0_NS_24const_host_device_scalarIT2_EEPKS1_PKS3_PT1_b,comdat
	.globl	_ZN9rocsparseL29coomvn_segmented_loops_reduceILj256EiddEEvT0_NS_24const_host_device_scalarIT2_EEPKS1_PKS3_PT1_b ; -- Begin function _ZN9rocsparseL29coomvn_segmented_loops_reduceILj256EiddEEvT0_NS_24const_host_device_scalarIT2_EEPKS1_PKS3_PT1_b
	.p2align	8
	.type	_ZN9rocsparseL29coomvn_segmented_loops_reduceILj256EiddEEvT0_NS_24const_host_device_scalarIT2_EEPKS1_PKS3_PT1_b,@function
_ZN9rocsparseL29coomvn_segmented_loops_reduceILj256EiddEEvT0_NS_24const_host_device_scalarIT2_EEPKS1_PKS3_PT1_b: ; @_ZN9rocsparseL29coomvn_segmented_loops_reduceILj256EiddEEvT0_NS_24const_host_device_scalarIT2_EEPKS1_PKS3_PT1_b
; %bb.0:
	s_clause 0x1
	s_load_b32 s4, s[0:1], 0x28
	s_load_b64 s[2:3], s[0:1], 0x8
	s_waitcnt lgkmcnt(0)
	s_bitcmp1_b32 s4, 0
	v_dual_mov_b32 v1, s2 :: v_dual_mov_b32 v2, s3
	s_cselect_b32 s4, -1, 0
	s_delay_alu instid0(SALU_CYCLE_1)
	s_and_b32 vcc_lo, exec_lo, s4
	s_cbranch_vccnz .LBB11_2
; %bb.1:
	v_dual_mov_b32 v1, s2 :: v_dual_mov_b32 v2, s3
	flat_load_b64 v[1:2], v[1:2]
.LBB11_2:
	s_mov_b32 s2, exec_lo
	s_waitcnt vmcnt(0) lgkmcnt(0)
	v_cmpx_neq_f64_e32 0, v[1:2]
	s_cbranch_execz .LBB11_44
; %bb.3:
	s_load_b32 s16, s[0:1], 0x0
	s_waitcnt lgkmcnt(0)
	s_cmp_lt_i32 s16, 1
	s_cbranch_scc1 .LBB11_44
; %bb.4:
	s_clause 0x1
	s_load_b128 s[12:15], s[0:1], 0x10
	s_load_b64 s[10:11], s[0:1], 0x20
	v_dual_mov_b32 v2, 0 :: v_dual_lshlrev_b32 v1, 2, v0
	v_lshlrev_b32_e32 v8, 3, v0
	v_cmp_ne_u32_e32 vcc_lo, 0, v0
	v_cmp_lt_u32_e64 s0, 1, v0
	s_delay_alu instid0(VALU_DEP_4)
	v_or_b32_e32 v9, 0x800, v1
	v_add_nc_u32_e32 v10, 0x7fc, v1
	v_add_nc_u32_e32 v11, -8, v8
	v_add_nc_u32_e32 v12, 0x7f8, v1
	v_add_nc_u32_e32 v13, -16, v8
	v_cmp_lt_u32_e64 s1, 3, v0
	v_add_nc_u32_e32 v14, 0x7f0, v1
	v_subrev_nc_u32_e32 v15, 32, v8
	v_cmp_lt_u32_e64 s2, 7, v0
	v_add_nc_u32_e32 v16, 0x7e0, v1
	v_subrev_nc_u32_e32 v17, 64, v8
	v_cmp_lt_u32_e64 s3, 15, v0
	v_add_nc_u32_e32 v18, 0x7c0, v1
	v_add_nc_u32_e32 v19, 0xffffff80, v8
	v_cmp_lt_u32_e64 s4, 31, v0
	v_add_nc_u32_e32 v20, 0x780, v1
	v_add_nc_u32_e32 v21, 0xffffff00, v8
	;; [unrolled: 3-line block ×4, first 2 shown]
	v_cmp_gt_u32_e64 s7, 0xff, v0
	s_mov_b32 s17, 0
	s_branch .LBB11_6
.LBB11_5:                               ;   in Loop: Header=BB11_6 Depth=1
	s_or_b32 exec_lo, exec_lo, s9
	s_addk_i32 s17, 0x100
	s_waitcnt_vscnt null, 0x0
	s_cmp_lt_i32 s17, s16
	s_barrier
	buffer_gl0_inv
	s_cbranch_scc0 .LBB11_44
.LBB11_6:                               ; =>This Inner Loop Header: Depth=1
	v_mov_b32_e32 v3, 0
	v_dual_mov_b32 v4, 0 :: v_dual_add_nc_u32 v5, s17, v0
	v_mov_b32_e32 v1, -1
	s_mov_b32 s9, exec_lo
	s_delay_alu instid0(VALU_DEP_2) | instskip(NEXT) | instid1(VALU_DEP_3)
	v_dual_mov_b32 v7, v4 :: v_dual_mov_b32 v6, v3
	v_cmpx_gt_i32_e64 s16, v5
	s_cbranch_execz .LBB11_8
; %bb.7:                                ;   in Loop: Header=BB11_6 Depth=1
	v_ashrrev_i32_e32 v6, 31, v5
	s_delay_alu instid0(VALU_DEP_1) | instskip(SKIP_2) | instid1(VALU_DEP_2)
	v_lshlrev_b64 v[26:27], 2, v[5:6]
	v_lshlrev_b64 v[5:6], 3, v[5:6]
	s_waitcnt lgkmcnt(0)
	v_add_co_u32 v26, s8, s12, v26
	s_delay_alu instid0(VALU_DEP_1) | instskip(NEXT) | instid1(VALU_DEP_3)
	v_add_co_ci_u32_e64 v27, s8, s13, v27, s8
	v_add_co_u32 v5, s8, s14, v5
	s_delay_alu instid0(VALU_DEP_1)
	v_add_co_ci_u32_e64 v6, s8, s15, v6, s8
	global_load_b32 v1, v[26:27], off
	global_load_b64 v[6:7], v[5:6], off
.LBB11_8:                               ;   in Loop: Header=BB11_6 Depth=1
	s_or_b32 exec_lo, exec_lo, s9
	s_waitcnt vmcnt(1)
	ds_store_b32 v9, v1
	s_waitcnt vmcnt(0)
	ds_store_b64 v8, v[6:7]
	s_waitcnt lgkmcnt(0)
	s_barrier
	buffer_gl0_inv
	s_and_saveexec_b32 s9, vcc_lo
	s_cbranch_execz .LBB11_12
; %bb.9:                                ;   in Loop: Header=BB11_6 Depth=1
	ds_load_2addr_b32 v[5:6], v10 offset1:1
	v_mov_b32_e32 v3, 0
	v_mov_b32_e32 v4, 0
	s_mov_b32 s18, exec_lo
	s_waitcnt lgkmcnt(0)
	v_cmpx_eq_u32_e64 v6, v5
	s_cbranch_execz .LBB11_11
; %bb.10:                               ;   in Loop: Header=BB11_6 Depth=1
	ds_load_b64 v[3:4], v11
.LBB11_11:                              ;   in Loop: Header=BB11_6 Depth=1
	s_or_b32 exec_lo, exec_lo, s18
.LBB11_12:                              ;   in Loop: Header=BB11_6 Depth=1
	s_delay_alu instid0(SALU_CYCLE_1)
	s_or_b32 exec_lo, exec_lo, s9
	s_waitcnt lgkmcnt(0)
	s_barrier
	buffer_gl0_inv
	ds_load_b64 v[5:6], v8
	s_waitcnt lgkmcnt(0)
	v_add_f64 v[26:27], v[3:4], v[5:6]
	v_mov_b32_e32 v3, 0
	v_mov_b32_e32 v4, 0
	s_delay_alu instid0(VALU_DEP_1)
	v_dual_mov_b32 v6, v4 :: v_dual_mov_b32 v5, v3
	ds_store_b64 v8, v[26:27]
	s_waitcnt lgkmcnt(0)
	s_barrier
	buffer_gl0_inv
	s_and_saveexec_b32 s9, s0
	s_cbranch_execz .LBB11_16
; %bb.13:                               ;   in Loop: Header=BB11_6 Depth=1
	ds_load_b32 v1, v9
	ds_load_b32 v7, v12
	v_mov_b32_e32 v5, 0
	v_mov_b32_e32 v6, 0
	s_mov_b32 s18, exec_lo
	s_waitcnt lgkmcnt(0)
	v_cmpx_eq_u32_e64 v1, v7
	s_cbranch_execz .LBB11_15
; %bb.14:                               ;   in Loop: Header=BB11_6 Depth=1
	ds_load_b64 v[5:6], v13
.LBB11_15:                              ;   in Loop: Header=BB11_6 Depth=1
	s_or_b32 exec_lo, exec_lo, s18
.LBB11_16:                              ;   in Loop: Header=BB11_6 Depth=1
	s_delay_alu instid0(SALU_CYCLE_1)
	s_or_b32 exec_lo, exec_lo, s9
	s_waitcnt lgkmcnt(0)
	s_barrier
	buffer_gl0_inv
	ds_load_b64 v[26:27], v8
	s_waitcnt lgkmcnt(0)
	v_add_f64 v[5:6], v[5:6], v[26:27]
	ds_store_b64 v8, v[5:6]
	s_waitcnt lgkmcnt(0)
	s_barrier
	buffer_gl0_inv
	s_and_saveexec_b32 s9, s1
	s_cbranch_execz .LBB11_20
; %bb.17:                               ;   in Loop: Header=BB11_6 Depth=1
	ds_load_b32 v1, v9
	ds_load_b32 v5, v14
	v_mov_b32_e32 v3, 0
	v_mov_b32_e32 v4, 0
	s_mov_b32 s18, exec_lo
	s_waitcnt lgkmcnt(0)
	v_cmpx_eq_u32_e64 v1, v5
	s_cbranch_execz .LBB11_19
; %bb.18:                               ;   in Loop: Header=BB11_6 Depth=1
	ds_load_b64 v[3:4], v15
.LBB11_19:                              ;   in Loop: Header=BB11_6 Depth=1
	s_or_b32 exec_lo, exec_lo, s18
.LBB11_20:                              ;   in Loop: Header=BB11_6 Depth=1
	s_delay_alu instid0(SALU_CYCLE_1)
	s_or_b32 exec_lo, exec_lo, s9
	s_waitcnt lgkmcnt(0)
	s_barrier
	buffer_gl0_inv
	ds_load_b64 v[5:6], v8
	s_waitcnt lgkmcnt(0)
	v_add_f64 v[26:27], v[3:4], v[5:6]
	v_mov_b32_e32 v3, 0
	v_mov_b32_e32 v4, 0
	s_delay_alu instid0(VALU_DEP_1)
	v_dual_mov_b32 v6, v4 :: v_dual_mov_b32 v5, v3
	ds_store_b64 v8, v[26:27]
	s_waitcnt lgkmcnt(0)
	s_barrier
	buffer_gl0_inv
	s_and_saveexec_b32 s9, s2
	s_cbranch_execz .LBB11_24
; %bb.21:                               ;   in Loop: Header=BB11_6 Depth=1
	ds_load_b32 v1, v9
	ds_load_b32 v7, v16
	v_mov_b32_e32 v5, 0
	v_mov_b32_e32 v6, 0
	s_mov_b32 s18, exec_lo
	s_waitcnt lgkmcnt(0)
	v_cmpx_eq_u32_e64 v1, v7
	s_cbranch_execz .LBB11_23
; %bb.22:                               ;   in Loop: Header=BB11_6 Depth=1
	ds_load_b64 v[5:6], v17
.LBB11_23:                              ;   in Loop: Header=BB11_6 Depth=1
	s_or_b32 exec_lo, exec_lo, s18
.LBB11_24:                              ;   in Loop: Header=BB11_6 Depth=1
	s_delay_alu instid0(SALU_CYCLE_1)
	s_or_b32 exec_lo, exec_lo, s9
	s_waitcnt lgkmcnt(0)
	s_barrier
	buffer_gl0_inv
	ds_load_b64 v[26:27], v8
	s_waitcnt lgkmcnt(0)
	v_add_f64 v[5:6], v[5:6], v[26:27]
	ds_store_b64 v8, v[5:6]
	s_waitcnt lgkmcnt(0)
	s_barrier
	buffer_gl0_inv
	s_and_saveexec_b32 s9, s3
	s_cbranch_execz .LBB11_28
; %bb.25:                               ;   in Loop: Header=BB11_6 Depth=1
	ds_load_b32 v1, v9
	ds_load_b32 v5, v18
	v_mov_b32_e32 v3, 0
	v_mov_b32_e32 v4, 0
	s_mov_b32 s18, exec_lo
	s_waitcnt lgkmcnt(0)
	v_cmpx_eq_u32_e64 v1, v5
	s_cbranch_execz .LBB11_27
; %bb.26:                               ;   in Loop: Header=BB11_6 Depth=1
	ds_load_b64 v[3:4], v19
.LBB11_27:                              ;   in Loop: Header=BB11_6 Depth=1
	s_or_b32 exec_lo, exec_lo, s18
.LBB11_28:                              ;   in Loop: Header=BB11_6 Depth=1
	;; [unrolled: 60-line block ×3, first 2 shown]
	s_delay_alu instid0(SALU_CYCLE_1)
	s_or_b32 exec_lo, exec_lo, s9
	s_waitcnt lgkmcnt(0)
	s_barrier
	buffer_gl0_inv
	ds_load_b64 v[5:6], v8
	s_waitcnt lgkmcnt(0)
	v_add_f64 v[5:6], v[3:4], v[5:6]
	v_mov_b32_e32 v3, 0
	v_mov_b32_e32 v4, 0
	ds_store_b64 v8, v[5:6]
	s_waitcnt lgkmcnt(0)
	s_barrier
	buffer_gl0_inv
	s_and_saveexec_b32 s9, s6
	s_cbranch_execz .LBB11_40
; %bb.37:                               ;   in Loop: Header=BB11_6 Depth=1
	ds_load_b32 v1, v9
	ds_load_b32 v5, v24
	v_mov_b32_e32 v3, 0
	v_mov_b32_e32 v4, 0
	s_mov_b32 s18, exec_lo
	s_waitcnt lgkmcnt(0)
	v_cmpx_eq_u32_e64 v1, v5
	s_cbranch_execz .LBB11_39
; %bb.38:                               ;   in Loop: Header=BB11_6 Depth=1
	ds_load_b64 v[3:4], v25
.LBB11_39:                              ;   in Loop: Header=BB11_6 Depth=1
	s_or_b32 exec_lo, exec_lo, s18
.LBB11_40:                              ;   in Loop: Header=BB11_6 Depth=1
	s_delay_alu instid0(SALU_CYCLE_1)
	s_or_b32 exec_lo, exec_lo, s9
	s_waitcnt lgkmcnt(0)
	s_barrier
	buffer_gl0_inv
	ds_load_b64 v[5:6], v8
	s_waitcnt lgkmcnt(0)
	v_add_f64 v[3:4], v[3:4], v[5:6]
	ds_store_b64 v8, v[3:4]
	s_waitcnt lgkmcnt(0)
	s_barrier
	buffer_gl0_inv
	ds_load_b32 v1, v9
	v_mov_b32_e32 v3, -1
	s_and_saveexec_b32 s8, s7
	s_cbranch_execz .LBB11_42
; %bb.41:                               ;   in Loop: Header=BB11_6 Depth=1
	ds_load_b32 v3, v9 offset:4
.LBB11_42:                              ;   in Loop: Header=BB11_6 Depth=1
	s_or_b32 exec_lo, exec_lo, s8
	s_waitcnt lgkmcnt(0)
	v_cmp_ne_u32_e64 s8, v1, v3
	v_cmp_lt_i32_e64 s9, -1, v1
	s_delay_alu instid0(VALU_DEP_1) | instskip(NEXT) | instid1(SALU_CYCLE_1)
	s_and_b32 s8, s9, s8
	s_and_saveexec_b32 s9, s8
	s_cbranch_execz .LBB11_5
; %bb.43:                               ;   in Loop: Header=BB11_6 Depth=1
	v_lshlrev_b64 v[3:4], 3, v[1:2]
	ds_load_b64 v[26:27], v8
	v_add_co_u32 v3, s8, s10, v3
	s_delay_alu instid0(VALU_DEP_1)
	v_add_co_ci_u32_e64 v4, s8, s11, v4, s8
	global_load_b64 v[5:6], v[3:4], off
	s_waitcnt vmcnt(0) lgkmcnt(0)
	v_add_f64 v[5:6], v[5:6], v[26:27]
	global_store_b64 v[3:4], v[5:6], off
	s_branch .LBB11_5
.LBB11_44:
	s_endpgm
	.section	.rodata,"a",@progbits
	.p2align	6, 0x0
	.amdhsa_kernel _ZN9rocsparseL29coomvn_segmented_loops_reduceILj256EiddEEvT0_NS_24const_host_device_scalarIT2_EEPKS1_PKS3_PT1_b
		.amdhsa_group_segment_fixed_size 3072
		.amdhsa_private_segment_fixed_size 0
		.amdhsa_kernarg_size 44
		.amdhsa_user_sgpr_count 15
		.amdhsa_user_sgpr_dispatch_ptr 0
		.amdhsa_user_sgpr_queue_ptr 0
		.amdhsa_user_sgpr_kernarg_segment_ptr 1
		.amdhsa_user_sgpr_dispatch_id 0
		.amdhsa_user_sgpr_private_segment_size 0
		.amdhsa_wavefront_size32 1
		.amdhsa_uses_dynamic_stack 0
		.amdhsa_enable_private_segment 0
		.amdhsa_system_sgpr_workgroup_id_x 1
		.amdhsa_system_sgpr_workgroup_id_y 0
		.amdhsa_system_sgpr_workgroup_id_z 0
		.amdhsa_system_sgpr_workgroup_info 0
		.amdhsa_system_vgpr_workitem_id 0
		.amdhsa_next_free_vgpr 28
		.amdhsa_next_free_sgpr 19
		.amdhsa_reserve_vcc 1
		.amdhsa_float_round_mode_32 0
		.amdhsa_float_round_mode_16_64 0
		.amdhsa_float_denorm_mode_32 3
		.amdhsa_float_denorm_mode_16_64 3
		.amdhsa_dx10_clamp 1
		.amdhsa_ieee_mode 1
		.amdhsa_fp16_overflow 0
		.amdhsa_workgroup_processor_mode 1
		.amdhsa_memory_ordered 1
		.amdhsa_forward_progress 0
		.amdhsa_shared_vgpr_count 0
		.amdhsa_exception_fp_ieee_invalid_op 0
		.amdhsa_exception_fp_denorm_src 0
		.amdhsa_exception_fp_ieee_div_zero 0
		.amdhsa_exception_fp_ieee_overflow 0
		.amdhsa_exception_fp_ieee_underflow 0
		.amdhsa_exception_fp_ieee_inexact 0
		.amdhsa_exception_int_div_zero 0
	.end_amdhsa_kernel
	.section	.text._ZN9rocsparseL29coomvn_segmented_loops_reduceILj256EiddEEvT0_NS_24const_host_device_scalarIT2_EEPKS1_PKS3_PT1_b,"axG",@progbits,_ZN9rocsparseL29coomvn_segmented_loops_reduceILj256EiddEEvT0_NS_24const_host_device_scalarIT2_EEPKS1_PKS3_PT1_b,comdat
.Lfunc_end11:
	.size	_ZN9rocsparseL29coomvn_segmented_loops_reduceILj256EiddEEvT0_NS_24const_host_device_scalarIT2_EEPKS1_PKS3_PT1_b, .Lfunc_end11-_ZN9rocsparseL29coomvn_segmented_loops_reduceILj256EiddEEvT0_NS_24const_host_device_scalarIT2_EEPKS1_PKS3_PT1_b
                                        ; -- End function
	.section	.AMDGPU.csdata,"",@progbits
; Kernel info:
; codeLenInByte = 1804
; NumSgprs: 21
; NumVgprs: 28
; ScratchSize: 0
; MemoryBound: 0
; FloatMode: 240
; IeeeMode: 1
; LDSByteSize: 3072 bytes/workgroup (compile time only)
; SGPRBlocks: 2
; VGPRBlocks: 3
; NumSGPRsForWavesPerEU: 21
; NumVGPRsForWavesPerEU: 28
; Occupancy: 16
; WaveLimiterHint : 0
; COMPUTE_PGM_RSRC2:SCRATCH_EN: 0
; COMPUTE_PGM_RSRC2:USER_SGPR: 15
; COMPUTE_PGM_RSRC2:TRAP_HANDLER: 0
; COMPUTE_PGM_RSRC2:TGID_X_EN: 1
; COMPUTE_PGM_RSRC2:TGID_Y_EN: 0
; COMPUTE_PGM_RSRC2:TGID_Z_EN: 0
; COMPUTE_PGM_RSRC2:TIDIG_COMP_CNT: 0
	.section	.text._ZN9rocsparseL23coomvn_aos_atomic_loopsILj256ELj1ElddddEEvlNS_24const_host_device_scalarIT5_EEPKT1_PKT2_PKT3_PT4_21rocsparse_index_base_b,"axG",@progbits,_ZN9rocsparseL23coomvn_aos_atomic_loopsILj256ELj1ElddddEEvlNS_24const_host_device_scalarIT5_EEPKT1_PKT2_PKT3_PT4_21rocsparse_index_base_b,comdat
	.globl	_ZN9rocsparseL23coomvn_aos_atomic_loopsILj256ELj1ElddddEEvlNS_24const_host_device_scalarIT5_EEPKT1_PKT2_PKT3_PT4_21rocsparse_index_base_b ; -- Begin function _ZN9rocsparseL23coomvn_aos_atomic_loopsILj256ELj1ElddddEEvlNS_24const_host_device_scalarIT5_EEPKT1_PKT2_PKT3_PT4_21rocsparse_index_base_b
	.p2align	8
	.type	_ZN9rocsparseL23coomvn_aos_atomic_loopsILj256ELj1ElddddEEvlNS_24const_host_device_scalarIT5_EEPKT1_PKT2_PKT3_PT4_21rocsparse_index_base_b,@function
_ZN9rocsparseL23coomvn_aos_atomic_loopsILj256ELj1ElddddEEvlNS_24const_host_device_scalarIT5_EEPKT1_PKT2_PKT3_PT4_21rocsparse_index_base_b: ; @_ZN9rocsparseL23coomvn_aos_atomic_loopsILj256ELj1ElddddEEvlNS_24const_host_device_scalarIT5_EEPKT1_PKT2_PKT3_PT4_21rocsparse_index_base_b
; %bb.0:
	s_clause 0x1
	s_load_b64 s[2:3], s[0:1], 0x30
	s_load_b128 s[4:7], s[0:1], 0x0
	s_waitcnt lgkmcnt(0)
	s_bitcmp1_b32 s3, 0
	v_dual_mov_b32 v5, s6 :: v_dual_mov_b32 v6, s7
	s_cselect_b32 s3, -1, 0
	s_delay_alu instid0(SALU_CYCLE_1)
	s_and_b32 vcc_lo, exec_lo, s3
	s_cbranch_vccnz .LBB12_2
; %bb.1:
	v_dual_mov_b32 v1, s6 :: v_dual_mov_b32 v2, s7
	flat_load_b64 v[5:6], v[1:2]
.LBB12_2:
	s_mov_b32 s3, exec_lo
	s_waitcnt vmcnt(0) lgkmcnt(0)
	v_cmpx_neq_f64_e32 0, v[5:6]
	s_cbranch_execz .LBB12_44
; %bb.3:
	v_dual_mov_b32 v2, 0 :: v_dual_mov_b32 v7, 0
	v_dual_mov_b32 v8, 0 :: v_dual_mov_b32 v9, -1
	v_lshl_or_b32 v1, s15, 8, v0
	v_mov_b32_e32 v10, -1
	s_mov_b32 s3, exec_lo
	s_delay_alu instid0(VALU_DEP_2)
	v_cmpx_gt_i64_e64 s[4:5], v[1:2]
	s_cbranch_execz .LBB12_5
; %bb.4:
	s_clause 0x1
	s_load_b128 s[4:7], s[0:1], 0x10
	s_load_b64 s[8:9], s[0:1], 0x20
	v_lshlrev_b64 v[3:4], 4, v[1:2]
	v_lshlrev_b64 v[1:2], 3, v[1:2]
	s_waitcnt lgkmcnt(0)
	s_delay_alu instid0(VALU_DEP_2) | instskip(NEXT) | instid1(VALU_DEP_3)
	v_add_co_u32 v3, vcc_lo, s4, v3
	v_add_co_ci_u32_e32 v4, vcc_lo, s5, v4, vcc_lo
	global_load_b128 v[9:12], v[3:4], off slc dlc
	s_waitcnt vmcnt(0)
	v_sub_co_u32 v3, vcc_lo, v11, s2
	v_subrev_co_ci_u32_e32 v4, vcc_lo, 0, v12, vcc_lo
	v_add_co_u32 v1, vcc_lo, s6, v1
	v_add_co_ci_u32_e32 v2, vcc_lo, s7, v2, vcc_lo
	s_delay_alu instid0(VALU_DEP_3) | instskip(NEXT) | instid1(VALU_DEP_1)
	v_lshlrev_b64 v[3:4], 3, v[3:4]
	v_add_co_u32 v3, vcc_lo, s8, v3
	s_delay_alu instid0(VALU_DEP_2)
	v_add_co_ci_u32_e32 v4, vcc_lo, s9, v4, vcc_lo
	v_sub_co_u32 v9, vcc_lo, v9, s2
	global_load_b64 v[1:2], v[1:2], off slc dlc
	global_load_b64 v[3:4], v[3:4], off
	v_subrev_co_ci_u32_e32 v10, vcc_lo, 0, v10, vcc_lo
	s_waitcnt vmcnt(0)
	v_mul_f64 v[7:8], v[1:2], v[3:4]
.LBB12_5:
	s_or_b32 exec_lo, exec_lo, s3
	v_lshlrev_b32_e32 v1, 3, v0
	s_mov_b32 s2, exec_lo
	s_delay_alu instid0(VALU_DEP_1)
	v_or_b32_e32 v2, 0x800, v1
	ds_store_2addr_stride64_b64 v1, v[9:10], v[7:8] offset1:4
	s_waitcnt lgkmcnt(0)
	s_barrier
	buffer_gl0_inv
	v_cmpx_ne_u32_e32 0, v0
	s_cbranch_execz .LBB12_9
; %bb.6:
	v_add_nc_u32_e32 v3, -8, v1
	s_mov_b32 s3, exec_lo
	ds_load_b64 v[3:4], v3
	s_waitcnt lgkmcnt(0)
	v_cmpx_eq_u64_e64 v[9:10], v[3:4]
	s_cbranch_execz .LBB12_8
; %bb.7:
	v_add_nc_u32_e32 v3, -8, v2
	ds_load_b64 v[3:4], v3
	s_waitcnt lgkmcnt(0)
	v_add_f64 v[7:8], v[7:8], v[3:4]
.LBB12_8:
	s_or_b32 exec_lo, exec_lo, s3
.LBB12_9:
	s_delay_alu instid0(SALU_CYCLE_1) | instskip(NEXT) | instid1(SALU_CYCLE_1)
	s_or_b32 exec_lo, exec_lo, s2
	s_mov_b32 s2, exec_lo
	s_barrier
	buffer_gl0_inv
	ds_store_b64 v2, v[7:8]
	s_waitcnt lgkmcnt(0)
	s_barrier
	buffer_gl0_inv
	v_cmpx_lt_u32_e32 1, v0
	s_cbranch_execz .LBB12_13
; %bb.10:
	v_add_nc_u32_e32 v3, -16, v1
	s_mov_b32 s3, exec_lo
	ds_load_b64 v[3:4], v3
	s_waitcnt lgkmcnt(0)
	v_cmpx_eq_u64_e64 v[9:10], v[3:4]
	s_cbranch_execz .LBB12_12
; %bb.11:
	v_add_nc_u32_e32 v3, -16, v2
	ds_load_b64 v[3:4], v3
	s_waitcnt lgkmcnt(0)
	v_add_f64 v[7:8], v[7:8], v[3:4]
.LBB12_12:
	s_or_b32 exec_lo, exec_lo, s3
.LBB12_13:
	s_delay_alu instid0(SALU_CYCLE_1) | instskip(NEXT) | instid1(SALU_CYCLE_1)
	s_or_b32 exec_lo, exec_lo, s2
	s_mov_b32 s2, exec_lo
	s_barrier
	buffer_gl0_inv
	ds_store_b64 v2, v[7:8]
	s_waitcnt lgkmcnt(0)
	s_barrier
	buffer_gl0_inv
	v_cmpx_lt_u32_e32 3, v0
	s_cbranch_execz .LBB12_17
; %bb.14:
	v_subrev_nc_u32_e32 v3, 32, v1
	s_mov_b32 s3, exec_lo
	ds_load_b64 v[3:4], v3
	s_waitcnt lgkmcnt(0)
	v_cmpx_eq_u64_e64 v[9:10], v[3:4]
	s_cbranch_execz .LBB12_16
; %bb.15:
	v_subrev_nc_u32_e32 v3, 32, v2
	ds_load_b64 v[3:4], v3
	s_waitcnt lgkmcnt(0)
	v_add_f64 v[7:8], v[7:8], v[3:4]
.LBB12_16:
	s_or_b32 exec_lo, exec_lo, s3
.LBB12_17:
	s_delay_alu instid0(SALU_CYCLE_1) | instskip(NEXT) | instid1(SALU_CYCLE_1)
	s_or_b32 exec_lo, exec_lo, s2
	s_mov_b32 s2, exec_lo
	s_barrier
	buffer_gl0_inv
	ds_store_b64 v2, v[7:8]
	s_waitcnt lgkmcnt(0)
	s_barrier
	buffer_gl0_inv
	v_cmpx_lt_u32_e32 7, v0
	s_cbranch_execz .LBB12_21
; %bb.18:
	v_subrev_nc_u32_e32 v3, 64, v1
	s_mov_b32 s3, exec_lo
	ds_load_b64 v[3:4], v3
	s_waitcnt lgkmcnt(0)
	v_cmpx_eq_u64_e64 v[9:10], v[3:4]
	s_cbranch_execz .LBB12_20
; %bb.19:
	v_subrev_nc_u32_e32 v3, 64, v2
	ds_load_b64 v[3:4], v3
	s_waitcnt lgkmcnt(0)
	v_add_f64 v[7:8], v[7:8], v[3:4]
.LBB12_20:
	s_or_b32 exec_lo, exec_lo, s3
.LBB12_21:
	s_delay_alu instid0(SALU_CYCLE_1) | instskip(NEXT) | instid1(SALU_CYCLE_1)
	s_or_b32 exec_lo, exec_lo, s2
	s_mov_b32 s2, exec_lo
	s_barrier
	buffer_gl0_inv
	ds_store_b64 v2, v[7:8]
	s_waitcnt lgkmcnt(0)
	s_barrier
	buffer_gl0_inv
	v_cmpx_lt_u32_e32 15, v0
	s_cbranch_execz .LBB12_25
; %bb.22:
	v_add_nc_u32_e32 v3, 0xffffff80, v1
	s_mov_b32 s3, exec_lo
	ds_load_b64 v[3:4], v3
	s_waitcnt lgkmcnt(0)
	v_cmpx_eq_u64_e64 v[9:10], v[3:4]
	s_cbranch_execz .LBB12_24
; %bb.23:
	v_add_nc_u32_e32 v3, 0xffffff80, v2
	ds_load_b64 v[3:4], v3
	s_waitcnt lgkmcnt(0)
	v_add_f64 v[7:8], v[7:8], v[3:4]
.LBB12_24:
	s_or_b32 exec_lo, exec_lo, s3
.LBB12_25:
	s_delay_alu instid0(SALU_CYCLE_1) | instskip(NEXT) | instid1(SALU_CYCLE_1)
	s_or_b32 exec_lo, exec_lo, s2
	s_mov_b32 s2, exec_lo
	s_barrier
	buffer_gl0_inv
	ds_store_b64 v2, v[7:8]
	s_waitcnt lgkmcnt(0)
	s_barrier
	buffer_gl0_inv
	v_cmpx_lt_u32_e32 31, v0
	s_cbranch_execz .LBB12_29
; %bb.26:
	v_add_nc_u32_e32 v3, 0xffffff00, v1
	s_mov_b32 s3, exec_lo
	ds_load_b64 v[3:4], v3
	s_waitcnt lgkmcnt(0)
	v_cmpx_eq_u64_e64 v[9:10], v[3:4]
	s_cbranch_execz .LBB12_28
; %bb.27:
	v_add_nc_u32_e32 v3, 0xffffff00, v2
	ds_load_b64 v[3:4], v3
	s_waitcnt lgkmcnt(0)
	v_add_f64 v[7:8], v[7:8], v[3:4]
.LBB12_28:
	s_or_b32 exec_lo, exec_lo, s3
.LBB12_29:
	s_delay_alu instid0(SALU_CYCLE_1) | instskip(NEXT) | instid1(SALU_CYCLE_1)
	s_or_b32 exec_lo, exec_lo, s2
	s_mov_b32 s2, exec_lo
	s_barrier
	buffer_gl0_inv
	ds_store_b64 v2, v[7:8]
	s_waitcnt lgkmcnt(0)
	s_barrier
	buffer_gl0_inv
	v_cmpx_lt_u32_e32 63, v0
	s_cbranch_execz .LBB12_33
; %bb.30:
	v_add_nc_u32_e32 v3, 0xfffffe00, v1
	s_mov_b32 s3, exec_lo
	ds_load_b64 v[3:4], v3
	s_waitcnt lgkmcnt(0)
	v_cmpx_eq_u64_e64 v[9:10], v[3:4]
	s_cbranch_execz .LBB12_32
; %bb.31:
	v_add_nc_u32_e32 v3, 0xfffffe00, v2
	ds_load_b64 v[3:4], v3
	s_waitcnt lgkmcnt(0)
	v_add_f64 v[7:8], v[7:8], v[3:4]
.LBB12_32:
	s_or_b32 exec_lo, exec_lo, s3
.LBB12_33:
	s_delay_alu instid0(SALU_CYCLE_1)
	s_or_b32 exec_lo, exec_lo, s2
	s_load_b64 s[2:3], s[0:1], 0x28
	s_mov_b32 s0, exec_lo
	s_waitcnt lgkmcnt(0)
	s_barrier
	buffer_gl0_inv
	ds_store_b64 v2, v[7:8]
	s_waitcnt lgkmcnt(0)
	s_barrier
	buffer_gl0_inv
	v_cmpx_lt_u32_e32 0x7f, v0
	s_cbranch_execz .LBB12_37
; %bb.34:
	v_add_nc_u32_e32 v3, 0xfffffc00, v1
	s_mov_b32 s1, exec_lo
	ds_load_b64 v[3:4], v3
	s_waitcnt lgkmcnt(0)
	v_cmpx_eq_u64_e64 v[9:10], v[3:4]
	s_cbranch_execz .LBB12_36
; %bb.35:
	v_add_nc_u32_e32 v3, 0xfffffc00, v2
	ds_load_b64 v[3:4], v3
	s_waitcnt lgkmcnt(0)
	v_add_f64 v[7:8], v[7:8], v[3:4]
.LBB12_36:
	s_or_b32 exec_lo, exec_lo, s1
.LBB12_37:
	s_delay_alu instid0(SALU_CYCLE_1) | instskip(NEXT) | instid1(SALU_CYCLE_1)
	s_or_b32 exec_lo, exec_lo, s0
	s_mov_b32 s1, exec_lo
	s_barrier
	buffer_gl0_inv
	ds_store_b64 v2, v[7:8]
	s_waitcnt lgkmcnt(0)
	s_barrier
	buffer_gl0_inv
	v_cmpx_gt_u32_e32 0xff, v0
	s_cbranch_execz .LBB12_41
; %bb.38:
	ds_load_b64 v[1:2], v1 offset:8
	v_cmp_lt_i64_e64 s0, -1, v[9:10]
	s_waitcnt lgkmcnt(0)
	v_cmp_ne_u64_e32 vcc_lo, v[9:10], v[1:2]
	s_delay_alu instid0(VALU_DEP_2) | instskip(NEXT) | instid1(SALU_CYCLE_1)
	s_and_b32 s0, s0, vcc_lo
	s_and_b32 exec_lo, exec_lo, s0
	s_cbranch_execz .LBB12_41
; %bb.39:
	v_lshlrev_b64 v[1:2], 3, v[9:10]
	v_mul_f64 v[13:14], v[5:6], v[7:8]
	s_mov_b32 s0, 0
	s_delay_alu instid0(VALU_DEP_2) | instskip(NEXT) | instid1(VALU_DEP_3)
	v_add_co_u32 v11, vcc_lo, s2, v1
	v_add_co_ci_u32_e32 v12, vcc_lo, s3, v2, vcc_lo
	global_load_b64 v[3:4], v[11:12], off
.LBB12_40:                              ; =>This Inner Loop Header: Depth=1
	s_waitcnt vmcnt(0)
	v_add_f64 v[1:2], v[3:4], v[13:14]
	global_atomic_cmpswap_b64 v[1:2], v[11:12], v[1:4], off glc
	s_waitcnt vmcnt(0)
	v_cmp_eq_u64_e32 vcc_lo, v[1:2], v[3:4]
	v_dual_mov_b32 v4, v2 :: v_dual_mov_b32 v3, v1
	s_or_b32 s0, vcc_lo, s0
	s_delay_alu instid0(SALU_CYCLE_1)
	s_and_not1_b32 exec_lo, exec_lo, s0
	s_cbranch_execnz .LBB12_40
.LBB12_41:
	s_or_b32 exec_lo, exec_lo, s1
	v_cmp_lt_i64_e32 vcc_lo, -1, v[9:10]
	v_cmp_eq_u32_e64 s0, 0xff, v0
	s_delay_alu instid0(VALU_DEP_1) | instskip(NEXT) | instid1(SALU_CYCLE_1)
	s_and_b32 s0, s0, vcc_lo
	s_and_b32 exec_lo, exec_lo, s0
	s_cbranch_execz .LBB12_44
; %bb.42:
	v_lshlrev_b64 v[0:1], 3, v[9:10]
	v_mul_f64 v[4:5], v[5:6], v[7:8]
	s_mov_b32 s0, 0
	s_delay_alu instid0(VALU_DEP_2) | instskip(NEXT) | instid1(VALU_DEP_3)
	v_add_co_u32 v9, vcc_lo, s2, v0
	v_add_co_ci_u32_e32 v10, vcc_lo, s3, v1, vcc_lo
	global_load_b64 v[2:3], v[9:10], off
.LBB12_43:                              ; =>This Inner Loop Header: Depth=1
	s_waitcnt vmcnt(0)
	v_add_f64 v[0:1], v[2:3], v[4:5]
	global_atomic_cmpswap_b64 v[0:1], v[9:10], v[0:3], off glc
	s_waitcnt vmcnt(0)
	v_cmp_eq_u64_e32 vcc_lo, v[0:1], v[2:3]
	v_dual_mov_b32 v3, v1 :: v_dual_mov_b32 v2, v0
	s_or_b32 s0, vcc_lo, s0
	s_delay_alu instid0(SALU_CYCLE_1)
	s_and_not1_b32 exec_lo, exec_lo, s0
	s_cbranch_execnz .LBB12_43
.LBB12_44:
	s_endpgm
	.section	.rodata,"a",@progbits
	.p2align	6, 0x0
	.amdhsa_kernel _ZN9rocsparseL23coomvn_aos_atomic_loopsILj256ELj1ElddddEEvlNS_24const_host_device_scalarIT5_EEPKT1_PKT2_PKT3_PT4_21rocsparse_index_base_b
		.amdhsa_group_segment_fixed_size 4096
		.amdhsa_private_segment_fixed_size 0
		.amdhsa_kernarg_size 56
		.amdhsa_user_sgpr_count 15
		.amdhsa_user_sgpr_dispatch_ptr 0
		.amdhsa_user_sgpr_queue_ptr 0
		.amdhsa_user_sgpr_kernarg_segment_ptr 1
		.amdhsa_user_sgpr_dispatch_id 0
		.amdhsa_user_sgpr_private_segment_size 0
		.amdhsa_wavefront_size32 1
		.amdhsa_uses_dynamic_stack 0
		.amdhsa_enable_private_segment 0
		.amdhsa_system_sgpr_workgroup_id_x 1
		.amdhsa_system_sgpr_workgroup_id_y 0
		.amdhsa_system_sgpr_workgroup_id_z 0
		.amdhsa_system_sgpr_workgroup_info 0
		.amdhsa_system_vgpr_workitem_id 0
		.amdhsa_next_free_vgpr 15
		.amdhsa_next_free_sgpr 16
		.amdhsa_reserve_vcc 1
		.amdhsa_float_round_mode_32 0
		.amdhsa_float_round_mode_16_64 0
		.amdhsa_float_denorm_mode_32 3
		.amdhsa_float_denorm_mode_16_64 3
		.amdhsa_dx10_clamp 1
		.amdhsa_ieee_mode 1
		.amdhsa_fp16_overflow 0
		.amdhsa_workgroup_processor_mode 1
		.amdhsa_memory_ordered 1
		.amdhsa_forward_progress 0
		.amdhsa_shared_vgpr_count 0
		.amdhsa_exception_fp_ieee_invalid_op 0
		.amdhsa_exception_fp_denorm_src 0
		.amdhsa_exception_fp_ieee_div_zero 0
		.amdhsa_exception_fp_ieee_overflow 0
		.amdhsa_exception_fp_ieee_underflow 0
		.amdhsa_exception_fp_ieee_inexact 0
		.amdhsa_exception_int_div_zero 0
	.end_amdhsa_kernel
	.section	.text._ZN9rocsparseL23coomvn_aos_atomic_loopsILj256ELj1ElddddEEvlNS_24const_host_device_scalarIT5_EEPKT1_PKT2_PKT3_PT4_21rocsparse_index_base_b,"axG",@progbits,_ZN9rocsparseL23coomvn_aos_atomic_loopsILj256ELj1ElddddEEvlNS_24const_host_device_scalarIT5_EEPKT1_PKT2_PKT3_PT4_21rocsparse_index_base_b,comdat
.Lfunc_end12:
	.size	_ZN9rocsparseL23coomvn_aos_atomic_loopsILj256ELj1ElddddEEvlNS_24const_host_device_scalarIT5_EEPKT1_PKT2_PKT3_PT4_21rocsparse_index_base_b, .Lfunc_end12-_ZN9rocsparseL23coomvn_aos_atomic_loopsILj256ELj1ElddddEEvlNS_24const_host_device_scalarIT5_EEPKT1_PKT2_PKT3_PT4_21rocsparse_index_base_b
                                        ; -- End function
	.section	.AMDGPU.csdata,"",@progbits
; Kernel info:
; codeLenInByte = 1600
; NumSgprs: 18
; NumVgprs: 15
; ScratchSize: 0
; MemoryBound: 1
; FloatMode: 240
; IeeeMode: 1
; LDSByteSize: 4096 bytes/workgroup (compile time only)
; SGPRBlocks: 2
; VGPRBlocks: 1
; NumSGPRsForWavesPerEU: 18
; NumVGPRsForWavesPerEU: 15
; Occupancy: 16
; WaveLimiterHint : 1
; COMPUTE_PGM_RSRC2:SCRATCH_EN: 0
; COMPUTE_PGM_RSRC2:USER_SGPR: 15
; COMPUTE_PGM_RSRC2:TRAP_HANDLER: 0
; COMPUTE_PGM_RSRC2:TGID_X_EN: 1
; COMPUTE_PGM_RSRC2:TGID_Y_EN: 0
; COMPUTE_PGM_RSRC2:TGID_Z_EN: 0
; COMPUTE_PGM_RSRC2:TIDIG_COMP_CNT: 0
	.section	.text._ZN9rocsparseL17coomvt_aos_kernelILj1024ElddddEEv20rocsparse_operation_lNS_24const_host_device_scalarIT4_EEPKT0_PKT1_PKT2_PT3_21rocsparse_index_base_b,"axG",@progbits,_ZN9rocsparseL17coomvt_aos_kernelILj1024ElddddEEv20rocsparse_operation_lNS_24const_host_device_scalarIT4_EEPKT0_PKT1_PKT2_PT3_21rocsparse_index_base_b,comdat
	.globl	_ZN9rocsparseL17coomvt_aos_kernelILj1024ElddddEEv20rocsparse_operation_lNS_24const_host_device_scalarIT4_EEPKT0_PKT1_PKT2_PT3_21rocsparse_index_base_b ; -- Begin function _ZN9rocsparseL17coomvt_aos_kernelILj1024ElddddEEv20rocsparse_operation_lNS_24const_host_device_scalarIT4_EEPKT0_PKT1_PKT2_PT3_21rocsparse_index_base_b
	.p2align	8
	.type	_ZN9rocsparseL17coomvt_aos_kernelILj1024ElddddEEv20rocsparse_operation_lNS_24const_host_device_scalarIT4_EEPKT0_PKT1_PKT2_PT3_21rocsparse_index_base_b,@function
_ZN9rocsparseL17coomvt_aos_kernelILj1024ElddddEEv20rocsparse_operation_lNS_24const_host_device_scalarIT4_EEPKT0_PKT1_PKT2_PT3_21rocsparse_index_base_b: ; @_ZN9rocsparseL17coomvt_aos_kernelILj1024ElddddEEv20rocsparse_operation_lNS_24const_host_device_scalarIT4_EEPKT0_PKT1_PKT2_PT3_21rocsparse_index_base_b
; %bb.0:
	s_clause 0x1
	s_load_b64 s[8:9], s[0:1], 0x38
	s_load_b128 s[4:7], s[0:1], 0x8
	s_waitcnt lgkmcnt(0)
	s_bitcmp1_b32 s9, 0
	v_dual_mov_b32 v4, s6 :: v_dual_mov_b32 v5, s7
	s_cselect_b32 s2, -1, 0
	s_delay_alu instid0(SALU_CYCLE_1)
	s_and_b32 vcc_lo, exec_lo, s2
	s_cbranch_vccnz .LBB13_2
; %bb.1:
	v_dual_mov_b32 v1, s6 :: v_dual_mov_b32 v2, s7
	flat_load_b64 v[4:5], v[1:2]
.LBB13_2:
	s_mov_b32 s2, exec_lo
	s_waitcnt vmcnt(0) lgkmcnt(0)
	v_cmpx_neq_f64_e32 0, v[4:5]
	s_cbranch_execz .LBB13_6
; %bb.3:
	s_load_b32 s2, s[0:1], 0x4c
	s_waitcnt lgkmcnt(0)
	s_and_b32 s2, s2, 0xffff
	s_delay_alu instid0(SALU_CYCLE_1) | instskip(SKIP_1) | instid1(VALU_DEP_1)
	v_mad_u64_u32 v[1:2], null, s15, s2, v[0:1]
	v_mov_b32_e32 v2, 0
	v_cmp_gt_i64_e32 vcc_lo, s[4:5], v[1:2]
	s_and_b32 exec_lo, exec_lo, vcc_lo
	s_cbranch_execz .LBB13_6
; %bb.4:
	s_load_b256 s[0:7], s[0:1], 0x18
	v_lshlrev_b64 v[6:7], 4, v[1:2]
	v_lshlrev_b64 v[0:1], 3, v[1:2]
	s_waitcnt lgkmcnt(0)
	s_delay_alu instid0(VALU_DEP_2) | instskip(NEXT) | instid1(VALU_DEP_3)
	v_add_co_u32 v6, vcc_lo, s0, v6
	v_add_co_ci_u32_e32 v7, vcc_lo, s1, v7, vcc_lo
	s_delay_alu instid0(VALU_DEP_3) | instskip(NEXT) | instid1(VALU_DEP_4)
	v_add_co_u32 v0, vcc_lo, s2, v0
	v_add_co_ci_u32_e32 v1, vcc_lo, s3, v1, vcc_lo
	global_load_b128 v[6:9], v[6:7], off
	s_mov_b32 s0, 0
	global_load_b64 v[0:1], v[0:1], off
	s_waitcnt vmcnt(1)
	v_sub_co_u32 v2, vcc_lo, v6, s8
	v_subrev_co_ci_u32_e32 v3, vcc_lo, 0, v7, vcc_lo
	s_waitcnt vmcnt(0)
	v_mul_f64 v[0:1], v[4:5], v[0:1]
	s_delay_alu instid0(VALU_DEP_2) | instskip(NEXT) | instid1(VALU_DEP_1)
	v_lshlrev_b64 v[2:3], 3, v[2:3]
	v_add_co_u32 v2, vcc_lo, s4, v2
	s_delay_alu instid0(VALU_DEP_2) | instskip(SKIP_3) | instid1(VALU_DEP_1)
	v_add_co_ci_u32_e32 v3, vcc_lo, s5, v3, vcc_lo
	global_load_b64 v[10:11], v[2:3], off
	v_sub_co_u32 v2, vcc_lo, v8, s8
	v_subrev_co_ci_u32_e32 v3, vcc_lo, 0, v9, vcc_lo
	v_lshlrev_b64 v[2:3], 3, v[2:3]
	s_delay_alu instid0(VALU_DEP_1) | instskip(NEXT) | instid1(VALU_DEP_2)
	v_add_co_u32 v6, vcc_lo, s6, v2
	v_add_co_ci_u32_e32 v7, vcc_lo, s7, v3, vcc_lo
	global_load_b64 v[2:3], v[6:7], off
	s_waitcnt vmcnt(1)
	v_mul_f64 v[4:5], v[0:1], v[10:11]
.LBB13_5:                               ; =>This Inner Loop Header: Depth=1
	s_waitcnt vmcnt(0)
	s_delay_alu instid0(VALU_DEP_1)
	v_add_f64 v[0:1], v[2:3], v[4:5]
	global_atomic_cmpswap_b64 v[0:1], v[6:7], v[0:3], off glc
	s_waitcnt vmcnt(0)
	v_cmp_eq_u64_e32 vcc_lo, v[0:1], v[2:3]
	v_dual_mov_b32 v3, v1 :: v_dual_mov_b32 v2, v0
	s_or_b32 s0, vcc_lo, s0
	s_delay_alu instid0(SALU_CYCLE_1)
	s_and_not1_b32 exec_lo, exec_lo, s0
	s_cbranch_execnz .LBB13_5
.LBB13_6:
	s_endpgm
	.section	.rodata,"a",@progbits
	.p2align	6, 0x0
	.amdhsa_kernel _ZN9rocsparseL17coomvt_aos_kernelILj1024ElddddEEv20rocsparse_operation_lNS_24const_host_device_scalarIT4_EEPKT0_PKT1_PKT2_PT3_21rocsparse_index_base_b
		.amdhsa_group_segment_fixed_size 0
		.amdhsa_private_segment_fixed_size 0
		.amdhsa_kernarg_size 320
		.amdhsa_user_sgpr_count 15
		.amdhsa_user_sgpr_dispatch_ptr 0
		.amdhsa_user_sgpr_queue_ptr 0
		.amdhsa_user_sgpr_kernarg_segment_ptr 1
		.amdhsa_user_sgpr_dispatch_id 0
		.amdhsa_user_sgpr_private_segment_size 0
		.amdhsa_wavefront_size32 1
		.amdhsa_uses_dynamic_stack 0
		.amdhsa_enable_private_segment 0
		.amdhsa_system_sgpr_workgroup_id_x 1
		.amdhsa_system_sgpr_workgroup_id_y 0
		.amdhsa_system_sgpr_workgroup_id_z 0
		.amdhsa_system_sgpr_workgroup_info 0
		.amdhsa_system_vgpr_workitem_id 0
		.amdhsa_next_free_vgpr 12
		.amdhsa_next_free_sgpr 16
		.amdhsa_reserve_vcc 1
		.amdhsa_float_round_mode_32 0
		.amdhsa_float_round_mode_16_64 0
		.amdhsa_float_denorm_mode_32 3
		.amdhsa_float_denorm_mode_16_64 3
		.amdhsa_dx10_clamp 1
		.amdhsa_ieee_mode 1
		.amdhsa_fp16_overflow 0
		.amdhsa_workgroup_processor_mode 1
		.amdhsa_memory_ordered 1
		.amdhsa_forward_progress 0
		.amdhsa_shared_vgpr_count 0
		.amdhsa_exception_fp_ieee_invalid_op 0
		.amdhsa_exception_fp_denorm_src 0
		.amdhsa_exception_fp_ieee_div_zero 0
		.amdhsa_exception_fp_ieee_overflow 0
		.amdhsa_exception_fp_ieee_underflow 0
		.amdhsa_exception_fp_ieee_inexact 0
		.amdhsa_exception_int_div_zero 0
	.end_amdhsa_kernel
	.section	.text._ZN9rocsparseL17coomvt_aos_kernelILj1024ElddddEEv20rocsparse_operation_lNS_24const_host_device_scalarIT4_EEPKT0_PKT1_PKT2_PT3_21rocsparse_index_base_b,"axG",@progbits,_ZN9rocsparseL17coomvt_aos_kernelILj1024ElddddEEv20rocsparse_operation_lNS_24const_host_device_scalarIT4_EEPKT0_PKT1_PKT2_PT3_21rocsparse_index_base_b,comdat
.Lfunc_end13:
	.size	_ZN9rocsparseL17coomvt_aos_kernelILj1024ElddddEEv20rocsparse_operation_lNS_24const_host_device_scalarIT4_EEPKT0_PKT1_PKT2_PT3_21rocsparse_index_base_b, .Lfunc_end13-_ZN9rocsparseL17coomvt_aos_kernelILj1024ElddddEEv20rocsparse_operation_lNS_24const_host_device_scalarIT4_EEPKT0_PKT1_PKT2_PT3_21rocsparse_index_base_b
                                        ; -- End function
	.section	.AMDGPU.csdata,"",@progbits
; Kernel info:
; codeLenInByte = 392
; NumSgprs: 18
; NumVgprs: 12
; ScratchSize: 0
; MemoryBound: 0
; FloatMode: 240
; IeeeMode: 1
; LDSByteSize: 0 bytes/workgroup (compile time only)
; SGPRBlocks: 2
; VGPRBlocks: 1
; NumSGPRsForWavesPerEU: 18
; NumVGPRsForWavesPerEU: 12
; Occupancy: 16
; WaveLimiterHint : 1
; COMPUTE_PGM_RSRC2:SCRATCH_EN: 0
; COMPUTE_PGM_RSRC2:USER_SGPR: 15
; COMPUTE_PGM_RSRC2:TRAP_HANDLER: 0
; COMPUTE_PGM_RSRC2:TGID_X_EN: 1
; COMPUTE_PGM_RSRC2:TGID_Y_EN: 0
; COMPUTE_PGM_RSRC2:TGID_Z_EN: 0
; COMPUTE_PGM_RSRC2:TIDIG_COMP_CNT: 0
	.section	.text._ZN9rocsparseL26coomvn_aos_segmented_loopsILj256ElddddEEvlT0_NS_24const_host_device_scalarIT4_EEPKS1_PKT1_PKT2_PT3_PS1_PS3_21rocsparse_index_base_b,"axG",@progbits,_ZN9rocsparseL26coomvn_aos_segmented_loopsILj256ElddddEEvlT0_NS_24const_host_device_scalarIT4_EEPKS1_PKT1_PKT2_PT3_PS1_PS3_21rocsparse_index_base_b,comdat
	.globl	_ZN9rocsparseL26coomvn_aos_segmented_loopsILj256ElddddEEvlT0_NS_24const_host_device_scalarIT4_EEPKS1_PKT1_PKT2_PT3_PS1_PS3_21rocsparse_index_base_b ; -- Begin function _ZN9rocsparseL26coomvn_aos_segmented_loopsILj256ElddddEEvlT0_NS_24const_host_device_scalarIT4_EEPKS1_PKT1_PKT2_PT3_PS1_PS3_21rocsparse_index_base_b
	.p2align	8
	.type	_ZN9rocsparseL26coomvn_aos_segmented_loopsILj256ElddddEEvlT0_NS_24const_host_device_scalarIT4_EEPKS1_PKT1_PKT2_PT3_PS1_PS3_21rocsparse_index_base_b,@function
_ZN9rocsparseL26coomvn_aos_segmented_loopsILj256ElddddEEvlT0_NS_24const_host_device_scalarIT4_EEPKS1_PKT1_PKT2_PT3_PS1_PS3_21rocsparse_index_base_b: ; @_ZN9rocsparseL26coomvn_aos_segmented_loopsILj256ElddddEEvlT0_NS_24const_host_device_scalarIT4_EEPKS1_PKT1_PKT2_PT3_PS1_PS3_21rocsparse_index_base_b
; %bb.0:
	s_clause 0x1
	s_load_b64 s[26:27], s[0:1], 0x48
	s_load_b64 s[2:3], s[0:1], 0x10
	s_mov_b32 s24, s15
	s_waitcnt lgkmcnt(0)
	s_bitcmp1_b32 s27, 0
	v_dual_mov_b32 v1, s2 :: v_dual_mov_b32 v2, s3
	s_cselect_b32 s4, -1, 0
	s_delay_alu instid0(SALU_CYCLE_1)
	s_and_b32 vcc_lo, exec_lo, s4
	s_cbranch_vccnz .LBB14_2
; %bb.1:
	v_dual_mov_b32 v1, s2 :: v_dual_mov_b32 v2, s3
	flat_load_b64 v[1:2], v[1:2]
.LBB14_2:
	s_mov_b32 s2, exec_lo
	s_waitcnt vmcnt(0) lgkmcnt(0)
	v_cmpx_neq_f64_e32 0, v[1:2]
	s_cbranch_execz .LBB14_89
; %bb.3:
	s_clause 0x2
	s_load_b128 s[16:19], s[0:1], 0x0
	s_load_b128 s[20:23], s[0:1], 0x18
	s_load_b64 s[34:35], s[0:1], 0x28
	s_mov_b32 s25, 0
	v_mov_b32_e32 v3, -1
	v_dual_mov_b32 v4, -1 :: v_dual_mov_b32 v5, 0
	v_mov_b32_e32 v6, 0
	s_waitcnt lgkmcnt(0)
	s_mul_i32 s3, s24, s19
	s_mul_hi_u32 s4, s24, s18
	s_mul_i32 s2, s24, s18
	s_add_i32 s3, s4, s3
	s_delay_alu instid0(SALU_CYCLE_1) | instskip(NEXT) | instid1(SALU_CYCLE_1)
	s_lshl_b64 s[2:3], s[2:3], 8
	v_mov_b32_e32 v8, s3
	v_or_b32_e32 v7, s2, v0
	s_mov_b32 s2, exec_lo
	s_delay_alu instid0(VALU_DEP_1)
	v_cmpx_gt_i64_e64 s[16:17], v[7:8]
	s_cbranch_execz .LBB14_5
; %bb.4:
	v_lshlrev_b64 v[3:4], 4, v[7:8]
	v_lshlrev_b64 v[9:10], 3, v[7:8]
	s_ashr_i32 s27, s26, 31
	s_delay_alu instid0(SALU_CYCLE_1) | instskip(NEXT) | instid1(VALU_DEP_2)
	s_lshl_b64 s[4:5], s[26:27], 3
	v_add_co_u32 v3, vcc_lo, s20, v3
	s_delay_alu instid0(VALU_DEP_3) | instskip(SKIP_3) | instid1(VALU_DEP_1)
	v_add_co_ci_u32_e32 v4, vcc_lo, s21, v4, vcc_lo
	global_load_b128 v[3:6], v[3:4], off slc dlc
	s_waitcnt vmcnt(0)
	v_lshlrev_b64 v[5:6], 3, v[5:6]
	v_add_co_u32 v11, vcc_lo, s34, v5
	s_delay_alu instid0(VALU_DEP_2) | instskip(SKIP_2) | instid1(VALU_DEP_4)
	v_add_co_ci_u32_e32 v12, vcc_lo, s35, v6, vcc_lo
	v_add_co_u32 v5, vcc_lo, s22, v9
	v_add_co_ci_u32_e32 v6, vcc_lo, s23, v10, vcc_lo
	v_sub_co_u32 v9, vcc_lo, v11, s4
	s_delay_alu instid0(VALU_DEP_4)
	v_subrev_co_ci_u32_e32 v10, vcc_lo, s5, v12, vcc_lo
	global_load_b64 v[5:6], v[5:6], off slc dlc
	global_load_b64 v[9:10], v[9:10], off
	v_sub_co_u32 v3, vcc_lo, v3, s26
	v_subrev_co_ci_u32_e32 v4, vcc_lo, 0, v4, vcc_lo
	s_waitcnt vmcnt(0)
	v_mul_f64 v[5:6], v[5:6], v[9:10]
.LBB14_5:
	s_or_b32 exec_lo, exec_lo, s2
	v_lshlrev_b32_e32 v15, 3, v0
	v_cmp_eq_u32_e64 s2, 0, v0
	v_cmp_ne_u32_e64 s3, 0, v0
	s_delay_alu instid0(VALU_DEP_3)
	v_or_b32_e32 v16, 0x800, v15
	v_add_nc_u32_e32 v17, -8, v15
	ds_store_2addr_stride64_b64 v15, v[3:4], v[5:6] offset1:4
	s_waitcnt lgkmcnt(0)
	s_barrier
	buffer_gl0_inv
	s_and_saveexec_b32 s4, s3
	s_cbranch_execz .LBB14_9
; %bb.6:
	ds_load_b64 v[9:10], v17
	s_mov_b32 s5, exec_lo
	s_waitcnt lgkmcnt(0)
	v_cmpx_eq_u64_e64 v[3:4], v[9:10]
	s_cbranch_execz .LBB14_8
; %bb.7:
	v_add_nc_u32_e32 v9, -8, v16
	ds_load_b64 v[9:10], v9
	s_waitcnt lgkmcnt(0)
	v_add_f64 v[5:6], v[5:6], v[9:10]
.LBB14_8:
	s_or_b32 exec_lo, exec_lo, s5
.LBB14_9:
	s_delay_alu instid0(SALU_CYCLE_1)
	s_or_b32 exec_lo, exec_lo, s4
	v_cmp_lt_u32_e64 s4, 1, v0
	v_add_nc_u32_e32 v18, -16, v15
	s_barrier
	buffer_gl0_inv
	ds_store_b64 v16, v[5:6]
	s_waitcnt lgkmcnt(0)
	s_barrier
	buffer_gl0_inv
	s_and_saveexec_b32 s5, s4
	s_cbranch_execz .LBB14_13
; %bb.10:
	ds_load_b64 v[9:10], v18
	s_mov_b32 s6, exec_lo
	s_waitcnt lgkmcnt(0)
	v_cmpx_eq_u64_e64 v[3:4], v[9:10]
	s_cbranch_execz .LBB14_12
; %bb.11:
	v_add_nc_u32_e32 v9, -16, v16
	ds_load_b64 v[9:10], v9
	s_waitcnt lgkmcnt(0)
	v_add_f64 v[5:6], v[5:6], v[9:10]
.LBB14_12:
	s_or_b32 exec_lo, exec_lo, s6
.LBB14_13:
	s_delay_alu instid0(SALU_CYCLE_1)
	s_or_b32 exec_lo, exec_lo, s5
	v_cmp_lt_u32_e64 s5, 3, v0
	v_subrev_nc_u32_e32 v19, 32, v15
	s_barrier
	buffer_gl0_inv
	ds_store_b64 v16, v[5:6]
	s_waitcnt lgkmcnt(0)
	s_barrier
	buffer_gl0_inv
	s_and_saveexec_b32 s6, s5
	s_cbranch_execz .LBB14_17
; %bb.14:
	ds_load_b64 v[9:10], v19
	s_mov_b32 s7, exec_lo
	s_waitcnt lgkmcnt(0)
	v_cmpx_eq_u64_e64 v[3:4], v[9:10]
	s_cbranch_execz .LBB14_16
; %bb.15:
	v_subrev_nc_u32_e32 v9, 32, v16
	ds_load_b64 v[9:10], v9
	s_waitcnt lgkmcnt(0)
	v_add_f64 v[5:6], v[5:6], v[9:10]
.LBB14_16:
	s_or_b32 exec_lo, exec_lo, s7
.LBB14_17:
	s_delay_alu instid0(SALU_CYCLE_1)
	s_or_b32 exec_lo, exec_lo, s6
	v_cmp_lt_u32_e64 s6, 7, v0
	v_subrev_nc_u32_e32 v20, 64, v15
	s_barrier
	buffer_gl0_inv
	ds_store_b64 v16, v[5:6]
	s_waitcnt lgkmcnt(0)
	s_barrier
	buffer_gl0_inv
	s_and_saveexec_b32 s7, s6
	s_cbranch_execz .LBB14_21
; %bb.18:
	ds_load_b64 v[9:10], v20
	s_mov_b32 s8, exec_lo
	s_waitcnt lgkmcnt(0)
	v_cmpx_eq_u64_e64 v[3:4], v[9:10]
	s_cbranch_execz .LBB14_20
; %bb.19:
	v_subrev_nc_u32_e32 v9, 64, v16
	ds_load_b64 v[9:10], v9
	s_waitcnt lgkmcnt(0)
	v_add_f64 v[5:6], v[5:6], v[9:10]
.LBB14_20:
	s_or_b32 exec_lo, exec_lo, s8
.LBB14_21:
	s_delay_alu instid0(SALU_CYCLE_1)
	s_or_b32 exec_lo, exec_lo, s7
	v_cmp_lt_u32_e64 s7, 15, v0
	v_add_nc_u32_e32 v21, 0xffffff80, v15
	s_barrier
	buffer_gl0_inv
	ds_store_b64 v16, v[5:6]
	s_waitcnt lgkmcnt(0)
	s_barrier
	buffer_gl0_inv
	s_and_saveexec_b32 s8, s7
	s_cbranch_execz .LBB14_25
; %bb.22:
	ds_load_b64 v[9:10], v21
	s_mov_b32 s9, exec_lo
	s_waitcnt lgkmcnt(0)
	v_cmpx_eq_u64_e64 v[3:4], v[9:10]
	s_cbranch_execz .LBB14_24
; %bb.23:
	v_add_nc_u32_e32 v9, 0xffffff80, v16
	ds_load_b64 v[9:10], v9
	s_waitcnt lgkmcnt(0)
	v_add_f64 v[5:6], v[5:6], v[9:10]
.LBB14_24:
	s_or_b32 exec_lo, exec_lo, s9
.LBB14_25:
	s_delay_alu instid0(SALU_CYCLE_1)
	s_or_b32 exec_lo, exec_lo, s8
	v_cmp_lt_u32_e64 s8, 31, v0
	v_add_nc_u32_e32 v22, 0xffffff00, v15
	s_barrier
	buffer_gl0_inv
	ds_store_b64 v16, v[5:6]
	s_waitcnt lgkmcnt(0)
	s_barrier
	buffer_gl0_inv
	s_and_saveexec_b32 s9, s8
	s_cbranch_execz .LBB14_29
; %bb.26:
	ds_load_b64 v[9:10], v22
	s_mov_b32 s10, exec_lo
	s_waitcnt lgkmcnt(0)
	v_cmpx_eq_u64_e64 v[3:4], v[9:10]
	s_cbranch_execz .LBB14_28
; %bb.27:
	v_add_nc_u32_e32 v9, 0xffffff00, v16
	ds_load_b64 v[9:10], v9
	s_waitcnt lgkmcnt(0)
	v_add_f64 v[5:6], v[5:6], v[9:10]
.LBB14_28:
	s_or_b32 exec_lo, exec_lo, s10
.LBB14_29:
	;; [unrolled: 26-line block ×3, first 2 shown]
	s_delay_alu instid0(SALU_CYCLE_1)
	s_or_b32 exec_lo, exec_lo, s10
	s_load_b64 s[28:29], s[0:1], 0x30
	v_cmp_lt_u32_e64 s10, 0x7f, v0
	v_add_nc_u32_e32 v24, 0xfffffc00, v15
	s_waitcnt lgkmcnt(0)
	s_barrier
	buffer_gl0_inv
	ds_store_b64 v16, v[5:6]
	s_waitcnt lgkmcnt(0)
	s_barrier
	buffer_gl0_inv
	s_and_saveexec_b32 s11, s10
	s_cbranch_execz .LBB14_37
; %bb.34:
	ds_load_b64 v[9:10], v24
	s_mov_b32 s12, exec_lo
	s_waitcnt lgkmcnt(0)
	v_cmpx_eq_u64_e64 v[3:4], v[9:10]
	s_cbranch_execz .LBB14_36
; %bb.35:
	v_add_nc_u32_e32 v9, 0xfffffc00, v16
	ds_load_b64 v[9:10], v9
	s_waitcnt lgkmcnt(0)
	v_add_f64 v[5:6], v[5:6], v[9:10]
.LBB14_36:
	s_or_b32 exec_lo, exec_lo, s12
.LBB14_37:
	s_delay_alu instid0(SALU_CYCLE_1)
	s_or_b32 exec_lo, exec_lo, s11
	v_cmp_gt_u32_e64 s11, 0xff, v0
	s_barrier
	buffer_gl0_inv
	ds_store_b64 v16, v[5:6]
	s_waitcnt lgkmcnt(0)
	s_barrier
	buffer_gl0_inv
	s_and_saveexec_b32 s13, s11
	s_cbranch_execz .LBB14_40
; %bb.38:
	ds_load_b64 v[9:10], v15 offset:8
	v_cmp_lt_i64_e64 s12, -1, v[3:4]
	s_waitcnt lgkmcnt(0)
	v_cmp_ne_u64_e32 vcc_lo, v[3:4], v[9:10]
	s_delay_alu instid0(VALU_DEP_2) | instskip(NEXT) | instid1(SALU_CYCLE_1)
	s_and_b32 s12, s12, vcc_lo
	s_and_b32 exec_lo, exec_lo, s12
	s_cbranch_execz .LBB14_40
; %bb.39:
	v_lshlrev_b64 v[9:10], 3, v[3:4]
	s_delay_alu instid0(VALU_DEP_1) | instskip(NEXT) | instid1(VALU_DEP_2)
	v_add_co_u32 v9, vcc_lo, s28, v9
	v_add_co_ci_u32_e32 v10, vcc_lo, s29, v10, vcc_lo
	global_load_b64 v[11:12], v[9:10], off
	s_waitcnt vmcnt(0)
	v_fma_f64 v[11:12], v[1:2], v[5:6], v[11:12]
	global_store_b64 v[9:10], v[11:12], off
.LBB14_40:
	s_or_b32 exec_lo, exec_lo, s13
	s_load_b128 s[12:15], s[0:1], 0x38
	v_cmp_lt_i64_e64 s0, s[18:19], 2
	s_delay_alu instid0(VALU_DEP_1)
	s_and_b32 vcc_lo, exec_lo, s0
	s_cbranch_vccnz .LBB14_87
; %bb.41:
	s_add_u32 s30, s18, -1
	s_addc_u32 s31, s19, -1
	s_ashr_i32 s27, s26, 31
	s_mul_i32 s0, s19, s24
	s_lshl_b64 s[36:37], s[26:27], 3
	s_mul_hi_u32 s19, s18, s24
	s_sub_u32 s1, s34, s36
	s_subb_u32 s27, s35, s37
	s_add_i32 s19, s19, s0
	s_mul_i32 s18, s18, s24
	v_lshlrev_b32_e32 v3, 4, v0
	s_lshl_b64 s[34:35], s[18:19], 11
	v_add_nc_u32_e32 v25, -8, v16
	s_add_u32 s0, s22, s34
	s_addc_u32 s22, s23, s35
	s_lshl_b64 s[18:19], s[18:19], 12
	v_add_co_u32 v4, s0, s0, v15
	s_delay_alu instid0(VALU_DEP_1) | instskip(SKIP_3) | instid1(VALU_DEP_1)
	v_add_co_ci_u32_e64 v5, null, s22, 0, s0
	s_add_u32 s0, s20, s18
	s_addc_u32 s18, s21, s19
	v_add_co_u32 v3, s0, s0, v3
	v_add_co_ci_u32_e64 v6, null, s18, 0, s0
	v_add_co_u32 v9, vcc_lo, 0x800, v4
	v_add_co_ci_u32_e32 v10, vcc_lo, 0, v5, vcc_lo
	s_delay_alu instid0(VALU_DEP_4) | instskip(NEXT) | instid1(VALU_DEP_4)
	v_add_co_u32 v11, vcc_lo, 0x1008, v3
	v_add_co_ci_u32_e32 v12, vcc_lo, 0, v6, vcc_lo
	v_add_co_u32 v7, vcc_lo, 0x100, v7
	v_dual_mov_b32 v33, 0 :: v_dual_add_nc_u32 v26, -16, v16
	v_subrev_nc_u32_e32 v27, 32, v16
	v_subrev_nc_u32_e32 v28, 64, v16
	v_add_nc_u32_e32 v29, 0xffffff80, v16
	v_add_nc_u32_e32 v30, 0xffffff00, v16
	;; [unrolled: 1-line block ×4, first 2 shown]
	v_add_co_ci_u32_e32 v8, vcc_lo, 0, v8, vcc_lo
	s_mov_b64 s[18:19], 0
	s_branch .LBB14_43
.LBB14_42:                              ;   in Loop: Header=BB14_43 Depth=1
	s_or_b32 exec_lo, exec_lo, s20
	v_add_co_u32 v9, vcc_lo, 0x800, v9
	s_add_u32 s18, s18, 1
	v_add_co_ci_u32_e32 v10, vcc_lo, 0, v10, vcc_lo
	s_addc_u32 s19, s19, 0
	v_add_co_u32 v11, vcc_lo, 0x1000, v11
	v_cmp_le_u64_e64 s0, s[30:31], s[18:19]
	v_add_co_ci_u32_e32 v12, vcc_lo, 0, v12, vcc_lo
	v_add_co_u32 v7, vcc_lo, 0x100, v7
	v_add_co_ci_u32_e32 v8, vcc_lo, 0, v8, vcc_lo
	s_delay_alu instid0(VALU_DEP_4)
	s_and_b32 vcc_lo, exec_lo, s0
	s_cbranch_vccnz .LBB14_87
.LBB14_43:                              ; =>This Inner Loop Header: Depth=1
	v_mov_b32_e32 v3, -1
	v_dual_mov_b32 v4, -1 :: v_dual_mov_b32 v5, 0
	v_mov_b32_e32 v6, 0
	s_mov_b32 s0, exec_lo
	v_cmpx_gt_i64_e64 s[16:17], v[7:8]
	s_cbranch_execz .LBB14_45
; %bb.44:                               ;   in Loop: Header=BB14_43 Depth=1
	global_load_b128 v[3:6], v[11:12], off offset:-8 slc dlc
	s_waitcnt vmcnt(0)
	v_lshlrev_b64 v[5:6], 3, v[5:6]
	s_delay_alu instid0(VALU_DEP_1) | instskip(NEXT) | instid1(VALU_DEP_2)
	v_add_co_u32 v5, vcc_lo, s1, v5
	v_add_co_ci_u32_e32 v6, vcc_lo, s27, v6, vcc_lo
	v_sub_co_u32 v3, vcc_lo, v3, s26
	global_load_b64 v[13:14], v[9:10], off slc dlc
	global_load_b64 v[5:6], v[5:6], off
	v_subrev_co_ci_u32_e32 v4, vcc_lo, 0, v4, vcc_lo
	s_waitcnt vmcnt(0)
	v_mul_f64 v[5:6], v[13:14], v[5:6]
.LBB14_45:                              ;   in Loop: Header=BB14_43 Depth=1
	s_or_b32 exec_lo, exec_lo, s0
	s_and_saveexec_b32 s0, s2
	s_cbranch_execz .LBB14_52
; %bb.46:                               ;   in Loop: Header=BB14_43 Depth=1
	ds_load_b64 v[13:14], v33 offset:2040
	s_mov_b32 s20, exec_lo
	s_waitcnt lgkmcnt(0)
	v_cmpx_ne_u64_e64 v[3:4], v[13:14]
	s_xor_b32 s20, exec_lo, s20
	s_cbranch_execz .LBB14_49
; %bb.47:                               ;   in Loop: Header=BB14_43 Depth=1
	v_cmp_gt_i64_e32 vcc_lo, 0, v[13:14]
	s_cbranch_vccnz .LBB14_49
; %bb.48:                               ;   in Loop: Header=BB14_43 Depth=1
	v_lshlrev_b64 v[13:14], 3, v[13:14]
	ds_load_b64 v[36:37], v33 offset:4088
	v_add_co_u32 v13, vcc_lo, s28, v13
	v_add_co_ci_u32_e32 v14, vcc_lo, s29, v14, vcc_lo
	global_load_b64 v[34:35], v[13:14], off
	s_waitcnt vmcnt(0) lgkmcnt(0)
	v_fma_f64 v[34:35], v[1:2], v[36:37], v[34:35]
	global_store_b64 v[13:14], v[34:35], off
.LBB14_49:                              ;   in Loop: Header=BB14_43 Depth=1
	s_and_not1_saveexec_b32 s20, s20
	s_cbranch_execz .LBB14_51
; %bb.50:                               ;   in Loop: Header=BB14_43 Depth=1
	ds_load_b64 v[13:14], v33 offset:4088
	s_waitcnt lgkmcnt(0)
	v_add_f64 v[5:6], v[5:6], v[13:14]
.LBB14_51:                              ;   in Loop: Header=BB14_43 Depth=1
	s_or_b32 exec_lo, exec_lo, s20
.LBB14_52:                              ;   in Loop: Header=BB14_43 Depth=1
	s_delay_alu instid0(SALU_CYCLE_1)
	s_or_b32 exec_lo, exec_lo, s0
	s_waitcnt lgkmcnt(0)
	s_waitcnt_vscnt null, 0x0
	s_barrier
	buffer_gl0_inv
	ds_store_b64 v15, v[3:4]
	ds_store_b64 v16, v[5:6]
	s_waitcnt lgkmcnt(0)
	s_barrier
	buffer_gl0_inv
	s_and_saveexec_b32 s0, s3
	s_cbranch_execz .LBB14_56
; %bb.53:                               ;   in Loop: Header=BB14_43 Depth=1
	ds_load_b64 v[13:14], v17
	s_mov_b32 s20, exec_lo
	s_waitcnt lgkmcnt(0)
	v_cmpx_eq_u64_e64 v[3:4], v[13:14]
	s_cbranch_execz .LBB14_55
; %bb.54:                               ;   in Loop: Header=BB14_43 Depth=1
	ds_load_b64 v[13:14], v25
	s_waitcnt lgkmcnt(0)
	v_add_f64 v[5:6], v[5:6], v[13:14]
.LBB14_55:                              ;   in Loop: Header=BB14_43 Depth=1
	s_or_b32 exec_lo, exec_lo, s20
.LBB14_56:                              ;   in Loop: Header=BB14_43 Depth=1
	s_delay_alu instid0(SALU_CYCLE_1)
	s_or_b32 exec_lo, exec_lo, s0
	s_barrier
	buffer_gl0_inv
	ds_store_b64 v16, v[5:6]
	s_waitcnt lgkmcnt(0)
	s_barrier
	buffer_gl0_inv
	s_and_saveexec_b32 s0, s4
	s_cbranch_execz .LBB14_60
; %bb.57:                               ;   in Loop: Header=BB14_43 Depth=1
	ds_load_b64 v[13:14], v18
	s_mov_b32 s20, exec_lo
	s_waitcnt lgkmcnt(0)
	v_cmpx_eq_u64_e64 v[3:4], v[13:14]
	s_cbranch_execz .LBB14_59
; %bb.58:                               ;   in Loop: Header=BB14_43 Depth=1
	ds_load_b64 v[13:14], v26
	s_waitcnt lgkmcnt(0)
	v_add_f64 v[5:6], v[5:6], v[13:14]
.LBB14_59:                              ;   in Loop: Header=BB14_43 Depth=1
	s_or_b32 exec_lo, exec_lo, s20
.LBB14_60:                              ;   in Loop: Header=BB14_43 Depth=1
	s_delay_alu instid0(SALU_CYCLE_1)
	s_or_b32 exec_lo, exec_lo, s0
	s_barrier
	buffer_gl0_inv
	;; [unrolled: 23-line block ×8, first 2 shown]
	ds_store_b64 v16, v[5:6]
	s_waitcnt lgkmcnt(0)
	s_barrier
	buffer_gl0_inv
	s_and_saveexec_b32 s20, s11
	s_cbranch_execz .LBB14_42
; %bb.85:                               ;   in Loop: Header=BB14_43 Depth=1
	ds_load_b64 v[13:14], v15 offset:8
	v_cmp_lt_i64_e64 s0, -1, v[3:4]
	s_waitcnt lgkmcnt(0)
	v_cmp_ne_u64_e32 vcc_lo, v[3:4], v[13:14]
	s_delay_alu instid0(VALU_DEP_2) | instskip(NEXT) | instid1(SALU_CYCLE_1)
	s_and_b32 s0, s0, vcc_lo
	s_and_b32 exec_lo, exec_lo, s0
	s_cbranch_execz .LBB14_42
; %bb.86:                               ;   in Loop: Header=BB14_43 Depth=1
	v_lshlrev_b64 v[13:14], 3, v[3:4]
	s_delay_alu instid0(VALU_DEP_1) | instskip(NEXT) | instid1(VALU_DEP_2)
	v_add_co_u32 v13, vcc_lo, s28, v13
	v_add_co_ci_u32_e32 v14, vcc_lo, s29, v14, vcc_lo
	global_load_b64 v[34:35], v[13:14], off
	s_waitcnt vmcnt(0)
	v_fma_f64 v[34:35], v[1:2], v[5:6], v[34:35]
	global_store_b64 v[13:14], v[34:35], off
	s_branch .LBB14_42
.LBB14_87:
	v_cmp_eq_u32_e32 vcc_lo, 0xff, v0
	s_and_b32 exec_lo, exec_lo, vcc_lo
	s_cbranch_execz .LBB14_89
; %bb.88:
	v_mul_f64 v[0:1], v[1:2], v[5:6]
	s_lshl_b64 s[0:1], s[24:25], 3
	v_mov_b32_e32 v2, 0
	s_waitcnt lgkmcnt(0)
	s_add_u32 s2, s12, s0
	s_addc_u32 s3, s13, s1
	s_add_u32 s0, s14, s0
	s_addc_u32 s1, s15, s1
	s_clause 0x1
	global_store_b64 v2, v[3:4], s[2:3] glc slc dlc
	global_store_b64 v2, v[0:1], s[0:1] glc slc dlc
.LBB14_89:
	s_nop 0
	s_sendmsg sendmsg(MSG_DEALLOC_VGPRS)
	s_endpgm
	.section	.rodata,"a",@progbits
	.p2align	6, 0x0
	.amdhsa_kernel _ZN9rocsparseL26coomvn_aos_segmented_loopsILj256ElddddEEvlT0_NS_24const_host_device_scalarIT4_EEPKS1_PKT1_PKT2_PT3_PS1_PS3_21rocsparse_index_base_b
		.amdhsa_group_segment_fixed_size 4096
		.amdhsa_private_segment_fixed_size 0
		.amdhsa_kernarg_size 80
		.amdhsa_user_sgpr_count 15
		.amdhsa_user_sgpr_dispatch_ptr 0
		.amdhsa_user_sgpr_queue_ptr 0
		.amdhsa_user_sgpr_kernarg_segment_ptr 1
		.amdhsa_user_sgpr_dispatch_id 0
		.amdhsa_user_sgpr_private_segment_size 0
		.amdhsa_wavefront_size32 1
		.amdhsa_uses_dynamic_stack 0
		.amdhsa_enable_private_segment 0
		.amdhsa_system_sgpr_workgroup_id_x 1
		.amdhsa_system_sgpr_workgroup_id_y 0
		.amdhsa_system_sgpr_workgroup_id_z 0
		.amdhsa_system_sgpr_workgroup_info 0
		.amdhsa_system_vgpr_workitem_id 0
		.amdhsa_next_free_vgpr 38
		.amdhsa_next_free_sgpr 38
		.amdhsa_reserve_vcc 1
		.amdhsa_float_round_mode_32 0
		.amdhsa_float_round_mode_16_64 0
		.amdhsa_float_denorm_mode_32 3
		.amdhsa_float_denorm_mode_16_64 3
		.amdhsa_dx10_clamp 1
		.amdhsa_ieee_mode 1
		.amdhsa_fp16_overflow 0
		.amdhsa_workgroup_processor_mode 1
		.amdhsa_memory_ordered 1
		.amdhsa_forward_progress 0
		.amdhsa_shared_vgpr_count 0
		.amdhsa_exception_fp_ieee_invalid_op 0
		.amdhsa_exception_fp_denorm_src 0
		.amdhsa_exception_fp_ieee_div_zero 0
		.amdhsa_exception_fp_ieee_overflow 0
		.amdhsa_exception_fp_ieee_underflow 0
		.amdhsa_exception_fp_ieee_inexact 0
		.amdhsa_exception_int_div_zero 0
	.end_amdhsa_kernel
	.section	.text._ZN9rocsparseL26coomvn_aos_segmented_loopsILj256ElddddEEvlT0_NS_24const_host_device_scalarIT4_EEPKS1_PKT1_PKT2_PT3_PS1_PS3_21rocsparse_index_base_b,"axG",@progbits,_ZN9rocsparseL26coomvn_aos_segmented_loopsILj256ElddddEEvlT0_NS_24const_host_device_scalarIT4_EEPKS1_PKT1_PKT2_PT3_PS1_PS3_21rocsparse_index_base_b,comdat
.Lfunc_end14:
	.size	_ZN9rocsparseL26coomvn_aos_segmented_loopsILj256ElddddEEvlT0_NS_24const_host_device_scalarIT4_EEPKS1_PKT1_PKT2_PT3_PS1_PS3_21rocsparse_index_base_b, .Lfunc_end14-_ZN9rocsparseL26coomvn_aos_segmented_loopsILj256ElddddEEvlT0_NS_24const_host_device_scalarIT4_EEPKS1_PKT1_PKT2_PT3_PS1_PS3_21rocsparse_index_base_b
                                        ; -- End function
	.section	.AMDGPU.csdata,"",@progbits
; Kernel info:
; codeLenInByte = 3168
; NumSgprs: 40
; NumVgprs: 38
; ScratchSize: 0
; MemoryBound: 1
; FloatMode: 240
; IeeeMode: 1
; LDSByteSize: 4096 bytes/workgroup (compile time only)
; SGPRBlocks: 4
; VGPRBlocks: 4
; NumSGPRsForWavesPerEU: 40
; NumVGPRsForWavesPerEU: 38
; Occupancy: 16
; WaveLimiterHint : 1
; COMPUTE_PGM_RSRC2:SCRATCH_EN: 0
; COMPUTE_PGM_RSRC2:USER_SGPR: 15
; COMPUTE_PGM_RSRC2:TRAP_HANDLER: 0
; COMPUTE_PGM_RSRC2:TGID_X_EN: 1
; COMPUTE_PGM_RSRC2:TGID_Y_EN: 0
; COMPUTE_PGM_RSRC2:TGID_Z_EN: 0
; COMPUTE_PGM_RSRC2:TIDIG_COMP_CNT: 0
	.section	.text._ZN9rocsparseL29coomvn_segmented_loops_reduceILj256ElddEEvT0_NS_24const_host_device_scalarIT2_EEPKS1_PKS3_PT1_b,"axG",@progbits,_ZN9rocsparseL29coomvn_segmented_loops_reduceILj256ElddEEvT0_NS_24const_host_device_scalarIT2_EEPKS1_PKS3_PT1_b,comdat
	.globl	_ZN9rocsparseL29coomvn_segmented_loops_reduceILj256ElddEEvT0_NS_24const_host_device_scalarIT2_EEPKS1_PKS3_PT1_b ; -- Begin function _ZN9rocsparseL29coomvn_segmented_loops_reduceILj256ElddEEvT0_NS_24const_host_device_scalarIT2_EEPKS1_PKS3_PT1_b
	.p2align	8
	.type	_ZN9rocsparseL29coomvn_segmented_loops_reduceILj256ElddEEvT0_NS_24const_host_device_scalarIT2_EEPKS1_PKS3_PT1_b,@function
_ZN9rocsparseL29coomvn_segmented_loops_reduceILj256ElddEEvT0_NS_24const_host_device_scalarIT2_EEPKS1_PKS3_PT1_b: ; @_ZN9rocsparseL29coomvn_segmented_loops_reduceILj256ElddEEvT0_NS_24const_host_device_scalarIT2_EEPKS1_PKS3_PT1_b
; %bb.0:
	s_clause 0x1
	s_load_b32 s2, s[0:1], 0x28
	s_load_b128 s[12:15], s[0:1], 0x0
	s_waitcnt lgkmcnt(0)
	s_bitcmp1_b32 s2, 0
	v_dual_mov_b32 v1, s14 :: v_dual_mov_b32 v2, s15
	s_cselect_b32 s2, -1, 0
	s_delay_alu instid0(SALU_CYCLE_1)
	s_and_b32 vcc_lo, exec_lo, s2
	s_cbranch_vccnz .LBB15_2
; %bb.1:
	v_dual_mov_b32 v1, s14 :: v_dual_mov_b32 v2, s15
	flat_load_b64 v[1:2], v[1:2]
.LBB15_2:
	s_mov_b32 s2, exec_lo
	s_waitcnt vmcnt(0) lgkmcnt(0)
	v_cmpx_neq_f64_e32 0, v[1:2]
	s_cbranch_execz .LBB15_44
; %bb.3:
	v_cmp_lt_i64_e64 s2, s[12:13], 1
	s_delay_alu instid0(VALU_DEP_1)
	s_and_b32 vcc_lo, exec_lo, s2
	s_cbranch_vccnz .LBB15_44
; %bb.4:
	s_clause 0x1
	s_load_b128 s[16:19], s[0:1], 0x10
	s_load_b64 s[10:11], s[0:1], 0x20
	v_lshlrev_b32_e32 v11, 3, v0
	v_cmp_ne_u32_e64 s0, 0, v0
	v_cmp_lt_u32_e64 s1, 1, v0
	v_cmp_lt_u32_e64 s2, 3, v0
	;; [unrolled: 1-line block ×3, first 2 shown]
	v_or_b32_e32 v12, 0x800, v11
	v_add_nc_u32_e32 v13, -8, v11
	v_add_nc_u32_e32 v14, 0x7f8, v11
	v_add_nc_u32_e32 v15, -16, v11
	v_add_nc_u32_e32 v16, 0x7f0, v11
	v_subrev_nc_u32_e32 v17, 32, v11
	v_add_nc_u32_e32 v18, 0x7e0, v11
	v_subrev_nc_u32_e32 v19, 64, v11
	v_add_nc_u32_e32 v20, 0x7c0, v11
	v_cmp_lt_u32_e64 s4, 15, v0
	v_add_nc_u32_e32 v21, 0xffffff80, v11
	v_add_nc_u32_e32 v22, 0x780, v11
	v_cmp_lt_u32_e64 s5, 31, v0
	s_waitcnt lgkmcnt(0)
	v_add_co_u32 v1, s9, s16, v11
	s_delay_alu instid0(VALU_DEP_1)
	v_add_co_ci_u32_e64 v2, null, s17, 0, s9
	v_add_co_u32 v3, s9, s18, v11
	v_add_nc_u32_e32 v23, 0xffffff00, v11
	v_add_nc_u32_e32 v24, 0x700, v11
	v_cmp_lt_u32_e64 s6, 63, v0
	v_add_nc_u32_e32 v25, 0xfffffe00, v11
	v_add_nc_u32_e32 v26, 0x600, v11
	v_cmp_lt_u32_e64 s7, 0x7f, v0
	v_add_nc_u32_e32 v27, 0xfffffc00, v11
	v_add_nc_u32_e32 v28, 0x400, v11
	v_cmp_gt_u32_e64 s8, 0xff, v0
	v_add_co_ci_u32_e64 v4, null, s19, 0, s9
	s_mov_b64 s[14:15], 0
	s_branch .LBB15_6
.LBB15_5:                               ;   in Loop: Header=BB15_6 Depth=1
	s_or_b32 exec_lo, exec_lo, s9
	s_add_u32 s14, s14, 0x100
	s_addc_u32 s15, s15, 0
	v_add_co_u32 v1, vcc_lo, 0x800, v1
	v_cmp_lt_i64_e64 s9, s[14:15], s[12:13]
	v_add_co_ci_u32_e32 v2, vcc_lo, 0, v2, vcc_lo
	v_add_co_u32 v3, vcc_lo, 0x800, v3
	v_add_co_ci_u32_e32 v4, vcc_lo, 0, v4, vcc_lo
	s_delay_alu instid0(VALU_DEP_4)
	s_and_b32 vcc_lo, exec_lo, s9
	s_waitcnt_vscnt null, 0x0
	s_barrier
	buffer_gl0_inv
	s_cbranch_vccz .LBB15_44
.LBB15_6:                               ; =>This Inner Loop Header: Depth=1
	v_add_co_u32 v7, s9, v0, s14
	s_delay_alu instid0(VALU_DEP_1) | instskip(SKIP_2) | instid1(VALU_DEP_3)
	v_add_co_ci_u32_e64 v8, null, 0, s15, s9
	v_mov_b32_e32 v5, 0
	v_mov_b32_e32 v6, 0
	v_cmp_gt_i64_e32 vcc_lo, s[12:13], v[7:8]
	v_mov_b32_e32 v7, -1
	v_mov_b32_e32 v8, -1
	s_delay_alu instid0(VALU_DEP_4)
	v_dual_mov_b32 v10, v6 :: v_dual_mov_b32 v9, v5
	s_and_saveexec_b32 s9, vcc_lo
	s_cbranch_execz .LBB15_8
; %bb.7:                                ;   in Loop: Header=BB15_6 Depth=1
	global_load_b64 v[7:8], v[1:2], off
	global_load_b64 v[9:10], v[3:4], off
.LBB15_8:                               ;   in Loop: Header=BB15_6 Depth=1
	s_or_b32 exec_lo, exec_lo, s9
	s_waitcnt vmcnt(1)
	ds_store_b64 v11, v[7:8]
	s_waitcnt vmcnt(0)
	ds_store_b64 v12, v[9:10]
	s_waitcnt lgkmcnt(0)
	s_barrier
	buffer_gl0_inv
	s_and_saveexec_b32 s9, s0
	s_cbranch_execz .LBB15_12
; %bb.9:                                ;   in Loop: Header=BB15_6 Depth=1
	ds_load_2addr_b64 v[5:8], v13 offset1:1
	s_waitcnt lgkmcnt(0)
	v_cmp_eq_u64_e32 vcc_lo, v[7:8], v[5:6]
	v_mov_b32_e32 v5, 0
	v_mov_b32_e32 v6, 0
	s_and_saveexec_b32 s16, vcc_lo
	s_cbranch_execz .LBB15_11
; %bb.10:                               ;   in Loop: Header=BB15_6 Depth=1
	ds_load_b64 v[5:6], v14
.LBB15_11:                              ;   in Loop: Header=BB15_6 Depth=1
	s_or_b32 exec_lo, exec_lo, s16
.LBB15_12:                              ;   in Loop: Header=BB15_6 Depth=1
	s_delay_alu instid0(SALU_CYCLE_1)
	s_or_b32 exec_lo, exec_lo, s9
	s_waitcnt lgkmcnt(0)
	s_barrier
	buffer_gl0_inv
	ds_load_b64 v[7:8], v12
	s_waitcnt lgkmcnt(0)
	v_add_f64 v[9:10], v[5:6], v[7:8]
	v_mov_b32_e32 v5, 0
	v_mov_b32_e32 v6, 0
	s_delay_alu instid0(VALU_DEP_1)
	v_dual_mov_b32 v8, v6 :: v_dual_mov_b32 v7, v5
	ds_store_b64 v12, v[9:10]
	s_waitcnt lgkmcnt(0)
	s_barrier
	buffer_gl0_inv
	s_and_saveexec_b32 s9, s1
	s_cbranch_execz .LBB15_16
; %bb.13:                               ;   in Loop: Header=BB15_6 Depth=1
	ds_load_b64 v[7:8], v11
	ds_load_b64 v[9:10], v15
	s_waitcnt lgkmcnt(0)
	v_cmp_eq_u64_e32 vcc_lo, v[7:8], v[9:10]
	v_mov_b32_e32 v7, 0
	v_mov_b32_e32 v8, 0
	s_and_saveexec_b32 s16, vcc_lo
	s_cbranch_execz .LBB15_15
; %bb.14:                               ;   in Loop: Header=BB15_6 Depth=1
	ds_load_b64 v[7:8], v16
.LBB15_15:                              ;   in Loop: Header=BB15_6 Depth=1
	s_or_b32 exec_lo, exec_lo, s16
.LBB15_16:                              ;   in Loop: Header=BB15_6 Depth=1
	s_delay_alu instid0(SALU_CYCLE_1)
	s_or_b32 exec_lo, exec_lo, s9
	s_waitcnt lgkmcnt(0)
	s_barrier
	buffer_gl0_inv
	ds_load_b64 v[9:10], v12
	s_waitcnt lgkmcnt(0)
	v_add_f64 v[7:8], v[7:8], v[9:10]
	ds_store_b64 v12, v[7:8]
	s_waitcnt lgkmcnt(0)
	s_barrier
	buffer_gl0_inv
	s_and_saveexec_b32 s9, s2
	s_cbranch_execz .LBB15_20
; %bb.17:                               ;   in Loop: Header=BB15_6 Depth=1
	ds_load_b64 v[5:6], v11
	ds_load_b64 v[7:8], v17
	s_waitcnt lgkmcnt(0)
	v_cmp_eq_u64_e32 vcc_lo, v[5:6], v[7:8]
	v_mov_b32_e32 v5, 0
	v_mov_b32_e32 v6, 0
	s_and_saveexec_b32 s16, vcc_lo
	s_cbranch_execz .LBB15_19
; %bb.18:                               ;   in Loop: Header=BB15_6 Depth=1
	ds_load_b64 v[5:6], v18
.LBB15_19:                              ;   in Loop: Header=BB15_6 Depth=1
	s_or_b32 exec_lo, exec_lo, s16
.LBB15_20:                              ;   in Loop: Header=BB15_6 Depth=1
	s_delay_alu instid0(SALU_CYCLE_1)
	s_or_b32 exec_lo, exec_lo, s9
	s_waitcnt lgkmcnt(0)
	s_barrier
	buffer_gl0_inv
	ds_load_b64 v[7:8], v12
	s_waitcnt lgkmcnt(0)
	v_add_f64 v[9:10], v[5:6], v[7:8]
	v_mov_b32_e32 v5, 0
	v_mov_b32_e32 v6, 0
	s_delay_alu instid0(VALU_DEP_1)
	v_dual_mov_b32 v8, v6 :: v_dual_mov_b32 v7, v5
	ds_store_b64 v12, v[9:10]
	s_waitcnt lgkmcnt(0)
	s_barrier
	buffer_gl0_inv
	s_and_saveexec_b32 s9, s3
	s_cbranch_execz .LBB15_24
; %bb.21:                               ;   in Loop: Header=BB15_6 Depth=1
	ds_load_b64 v[7:8], v11
	ds_load_b64 v[9:10], v19
	s_waitcnt lgkmcnt(0)
	v_cmp_eq_u64_e32 vcc_lo, v[7:8], v[9:10]
	v_mov_b32_e32 v7, 0
	v_mov_b32_e32 v8, 0
	s_and_saveexec_b32 s16, vcc_lo
	s_cbranch_execz .LBB15_23
; %bb.22:                               ;   in Loop: Header=BB15_6 Depth=1
	ds_load_b64 v[7:8], v20
.LBB15_23:                              ;   in Loop: Header=BB15_6 Depth=1
	s_or_b32 exec_lo, exec_lo, s16
.LBB15_24:                              ;   in Loop: Header=BB15_6 Depth=1
	s_delay_alu instid0(SALU_CYCLE_1)
	s_or_b32 exec_lo, exec_lo, s9
	s_waitcnt lgkmcnt(0)
	s_barrier
	buffer_gl0_inv
	ds_load_b64 v[9:10], v12
	s_waitcnt lgkmcnt(0)
	v_add_f64 v[7:8], v[7:8], v[9:10]
	ds_store_b64 v12, v[7:8]
	s_waitcnt lgkmcnt(0)
	s_barrier
	buffer_gl0_inv
	s_and_saveexec_b32 s9, s4
	s_cbranch_execz .LBB15_28
; %bb.25:                               ;   in Loop: Header=BB15_6 Depth=1
	ds_load_b64 v[5:6], v11
	ds_load_b64 v[7:8], v21
	s_waitcnt lgkmcnt(0)
	v_cmp_eq_u64_e32 vcc_lo, v[5:6], v[7:8]
	v_mov_b32_e32 v5, 0
	v_mov_b32_e32 v6, 0
	s_and_saveexec_b32 s16, vcc_lo
	s_cbranch_execz .LBB15_27
; %bb.26:                               ;   in Loop: Header=BB15_6 Depth=1
	ds_load_b64 v[5:6], v22
.LBB15_27:                              ;   in Loop: Header=BB15_6 Depth=1
	s_or_b32 exec_lo, exec_lo, s16
.LBB15_28:                              ;   in Loop: Header=BB15_6 Depth=1
	;; [unrolled: 60-line block ×3, first 2 shown]
	s_delay_alu instid0(SALU_CYCLE_1)
	s_or_b32 exec_lo, exec_lo, s9
	s_waitcnt lgkmcnt(0)
	s_barrier
	buffer_gl0_inv
	ds_load_b64 v[7:8], v12
	s_waitcnt lgkmcnt(0)
	v_add_f64 v[7:8], v[5:6], v[7:8]
	v_mov_b32_e32 v5, 0
	v_mov_b32_e32 v6, 0
	ds_store_b64 v12, v[7:8]
	s_waitcnt lgkmcnt(0)
	s_barrier
	buffer_gl0_inv
	s_and_saveexec_b32 s9, s7
	s_cbranch_execz .LBB15_40
; %bb.37:                               ;   in Loop: Header=BB15_6 Depth=1
	ds_load_b64 v[5:6], v11
	ds_load_b64 v[7:8], v27
	s_waitcnt lgkmcnt(0)
	v_cmp_eq_u64_e32 vcc_lo, v[5:6], v[7:8]
	v_mov_b32_e32 v5, 0
	v_mov_b32_e32 v6, 0
	s_and_saveexec_b32 s16, vcc_lo
	s_cbranch_execz .LBB15_39
; %bb.38:                               ;   in Loop: Header=BB15_6 Depth=1
	ds_load_b64 v[5:6], v28
.LBB15_39:                              ;   in Loop: Header=BB15_6 Depth=1
	s_or_b32 exec_lo, exec_lo, s16
.LBB15_40:                              ;   in Loop: Header=BB15_6 Depth=1
	s_delay_alu instid0(SALU_CYCLE_1)
	s_or_b32 exec_lo, exec_lo, s9
	s_waitcnt lgkmcnt(0)
	s_barrier
	buffer_gl0_inv
	ds_load_b64 v[7:8], v12
	s_waitcnt lgkmcnt(0)
	v_add_f64 v[5:6], v[5:6], v[7:8]
	v_mov_b32_e32 v7, -1
	v_mov_b32_e32 v8, -1
	ds_store_b64 v12, v[5:6]
	s_waitcnt lgkmcnt(0)
	s_barrier
	buffer_gl0_inv
	ds_load_b64 v[5:6], v11
	s_and_saveexec_b32 s9, s8
	s_cbranch_execz .LBB15_42
; %bb.41:                               ;   in Loop: Header=BB15_6 Depth=1
	ds_load_b64 v[7:8], v11 offset:8
.LBB15_42:                              ;   in Loop: Header=BB15_6 Depth=1
	s_or_b32 exec_lo, exec_lo, s9
	s_waitcnt lgkmcnt(0)
	v_cmp_ne_u64_e32 vcc_lo, v[5:6], v[7:8]
	v_cmp_lt_i64_e64 s9, -1, v[5:6]
	s_delay_alu instid0(VALU_DEP_1) | instskip(NEXT) | instid1(SALU_CYCLE_1)
	s_and_b32 s16, s9, vcc_lo
	s_and_saveexec_b32 s9, s16
	s_cbranch_execz .LBB15_5
; %bb.43:                               ;   in Loop: Header=BB15_6 Depth=1
	v_lshlrev_b64 v[5:6], 3, v[5:6]
	ds_load_b64 v[9:10], v12
	v_add_co_u32 v5, vcc_lo, s10, v5
	v_add_co_ci_u32_e32 v6, vcc_lo, s11, v6, vcc_lo
	global_load_b64 v[7:8], v[5:6], off
	s_waitcnt vmcnt(0) lgkmcnt(0)
	v_add_f64 v[7:8], v[7:8], v[9:10]
	global_store_b64 v[5:6], v[7:8], off
	s_branch .LBB15_5
.LBB15_44:
	s_endpgm
	.section	.rodata,"a",@progbits
	.p2align	6, 0x0
	.amdhsa_kernel _ZN9rocsparseL29coomvn_segmented_loops_reduceILj256ElddEEvT0_NS_24const_host_device_scalarIT2_EEPKS1_PKS3_PT1_b
		.amdhsa_group_segment_fixed_size 4096
		.amdhsa_private_segment_fixed_size 0
		.amdhsa_kernarg_size 44
		.amdhsa_user_sgpr_count 15
		.amdhsa_user_sgpr_dispatch_ptr 0
		.amdhsa_user_sgpr_queue_ptr 0
		.amdhsa_user_sgpr_kernarg_segment_ptr 1
		.amdhsa_user_sgpr_dispatch_id 0
		.amdhsa_user_sgpr_private_segment_size 0
		.amdhsa_wavefront_size32 1
		.amdhsa_uses_dynamic_stack 0
		.amdhsa_enable_private_segment 0
		.amdhsa_system_sgpr_workgroup_id_x 1
		.amdhsa_system_sgpr_workgroup_id_y 0
		.amdhsa_system_sgpr_workgroup_id_z 0
		.amdhsa_system_sgpr_workgroup_info 0
		.amdhsa_system_vgpr_workitem_id 0
		.amdhsa_next_free_vgpr 29
		.amdhsa_next_free_sgpr 20
		.amdhsa_reserve_vcc 1
		.amdhsa_float_round_mode_32 0
		.amdhsa_float_round_mode_16_64 0
		.amdhsa_float_denorm_mode_32 3
		.amdhsa_float_denorm_mode_16_64 3
		.amdhsa_dx10_clamp 1
		.amdhsa_ieee_mode 1
		.amdhsa_fp16_overflow 0
		.amdhsa_workgroup_processor_mode 1
		.amdhsa_memory_ordered 1
		.amdhsa_forward_progress 0
		.amdhsa_shared_vgpr_count 0
		.amdhsa_exception_fp_ieee_invalid_op 0
		.amdhsa_exception_fp_denorm_src 0
		.amdhsa_exception_fp_ieee_div_zero 0
		.amdhsa_exception_fp_ieee_overflow 0
		.amdhsa_exception_fp_ieee_underflow 0
		.amdhsa_exception_fp_ieee_inexact 0
		.amdhsa_exception_int_div_zero 0
	.end_amdhsa_kernel
	.section	.text._ZN9rocsparseL29coomvn_segmented_loops_reduceILj256ElddEEvT0_NS_24const_host_device_scalarIT2_EEPKS1_PKS3_PT1_b,"axG",@progbits,_ZN9rocsparseL29coomvn_segmented_loops_reduceILj256ElddEEvT0_NS_24const_host_device_scalarIT2_EEPKS1_PKS3_PT1_b,comdat
.Lfunc_end15:
	.size	_ZN9rocsparseL29coomvn_segmented_loops_reduceILj256ElddEEvT0_NS_24const_host_device_scalarIT2_EEPKS1_PKS3_PT1_b, .Lfunc_end15-_ZN9rocsparseL29coomvn_segmented_loops_reduceILj256ElddEEvT0_NS_24const_host_device_scalarIT2_EEPKS1_PKS3_PT1_b
                                        ; -- End function
	.section	.AMDGPU.csdata,"",@progbits
; Kernel info:
; codeLenInByte = 1796
; NumSgprs: 22
; NumVgprs: 29
; ScratchSize: 0
; MemoryBound: 0
; FloatMode: 240
; IeeeMode: 1
; LDSByteSize: 4096 bytes/workgroup (compile time only)
; SGPRBlocks: 2
; VGPRBlocks: 3
; NumSGPRsForWavesPerEU: 22
; NumVGPRsForWavesPerEU: 29
; Occupancy: 16
; WaveLimiterHint : 0
; COMPUTE_PGM_RSRC2:SCRATCH_EN: 0
; COMPUTE_PGM_RSRC2:USER_SGPR: 15
; COMPUTE_PGM_RSRC2:TRAP_HANDLER: 0
; COMPUTE_PGM_RSRC2:TGID_X_EN: 1
; COMPUTE_PGM_RSRC2:TGID_Y_EN: 0
; COMPUTE_PGM_RSRC2:TGID_Z_EN: 0
; COMPUTE_PGM_RSRC2:TIDIG_COMP_CNT: 0
	.section	.text._ZN9rocsparseL23coomvn_aos_atomic_loopsILj256ELj1Ei21rocsparse_complex_numIfES2_S2_S2_EEvlNS_24const_host_device_scalarIT5_EEPKT1_PKT2_PKT3_PT4_21rocsparse_index_base_b,"axG",@progbits,_ZN9rocsparseL23coomvn_aos_atomic_loopsILj256ELj1Ei21rocsparse_complex_numIfES2_S2_S2_EEvlNS_24const_host_device_scalarIT5_EEPKT1_PKT2_PKT3_PT4_21rocsparse_index_base_b,comdat
	.globl	_ZN9rocsparseL23coomvn_aos_atomic_loopsILj256ELj1Ei21rocsparse_complex_numIfES2_S2_S2_EEvlNS_24const_host_device_scalarIT5_EEPKT1_PKT2_PKT3_PT4_21rocsparse_index_base_b ; -- Begin function _ZN9rocsparseL23coomvn_aos_atomic_loopsILj256ELj1Ei21rocsparse_complex_numIfES2_S2_S2_EEvlNS_24const_host_device_scalarIT5_EEPKT1_PKT2_PKT3_PT4_21rocsparse_index_base_b
	.p2align	8
	.type	_ZN9rocsparseL23coomvn_aos_atomic_loopsILj256ELj1Ei21rocsparse_complex_numIfES2_S2_S2_EEvlNS_24const_host_device_scalarIT5_EEPKT1_PKT2_PKT3_PT4_21rocsparse_index_base_b,@function
_ZN9rocsparseL23coomvn_aos_atomic_loopsILj256ELj1Ei21rocsparse_complex_numIfES2_S2_S2_EEvlNS_24const_host_device_scalarIT5_EEPKT1_PKT2_PKT3_PT4_21rocsparse_index_base_b: ; @_ZN9rocsparseL23coomvn_aos_atomic_loopsILj256ELj1Ei21rocsparse_complex_numIfES2_S2_S2_EEvlNS_24const_host_device_scalarIT5_EEPKT1_PKT2_PKT3_PT4_21rocsparse_index_base_b
; %bb.0:
	s_clause 0x2
	s_load_b64 s[8:9], s[0:1], 0x30
	s_load_b64 s[2:3], s[0:1], 0x8
	s_load_b128 s[4:7], s[0:1], 0x0
	s_waitcnt lgkmcnt(0)
	s_bitcmp1_b32 s9, 0
	v_mov_b32_e32 v8, s2
	s_cselect_b32 s9, -1, 0
	s_delay_alu instid0(SALU_CYCLE_1)
	s_and_b32 vcc_lo, exec_lo, s9
	s_xor_b32 s2, s9, -1
	s_cbranch_vccnz .LBB16_2
; %bb.1:
	v_dual_mov_b32 v1, s6 :: v_dual_mov_b32 v2, s7
	flat_load_b32 v8, v[1:2]
.LBB16_2:
	v_mov_b32_e32 v9, s3
	s_and_not1_b32 vcc_lo, exec_lo, s2
	s_cbranch_vccnz .LBB16_4
; %bb.3:
	v_dual_mov_b32 v1, s6 :: v_dual_mov_b32 v2, s7
	flat_load_b32 v9, v[1:2] offset:4
.LBB16_4:
	s_waitcnt vmcnt(0) lgkmcnt(0)
	v_cmp_neq_f32_e32 vcc_lo, 0, v8
	v_cmp_neq_f32_e64 s2, 0, v9
	s_delay_alu instid0(VALU_DEP_1) | instskip(NEXT) | instid1(SALU_CYCLE_1)
	s_or_b32 s2, vcc_lo, s2
	s_and_saveexec_b32 s3, s2
	s_cbranch_execz .LBB16_50
; %bb.5:
	v_mov_b32_e32 v5, 0
	v_lshl_or_b32 v4, s15, 8, v0
	v_mov_b32_e32 v3, -1
	s_mov_b32 s2, exec_lo
	s_delay_alu instid0(VALU_DEP_3)
	v_mov_b32_e32 v2, v5
	v_mov_b32_e32 v1, v5
	v_cmpx_gt_i64_e64 s[4:5], v[4:5]
	s_cbranch_execz .LBB16_7
; %bb.6:
	s_clause 0x1
	s_load_b128 s[4:7], s[0:1], 0x10
	s_load_b64 s[10:11], s[0:1], 0x20
	v_lshlrev_b64 v[1:2], 3, v[4:5]
	s_waitcnt lgkmcnt(0)
	s_delay_alu instid0(VALU_DEP_1) | instskip(NEXT) | instid1(VALU_DEP_2)
	v_add_co_u32 v3, vcc_lo, s4, v1
	v_add_co_ci_u32_e32 v4, vcc_lo, s5, v2, vcc_lo
	v_add_co_u32 v1, vcc_lo, s6, v1
	v_add_co_ci_u32_e32 v2, vcc_lo, s7, v2, vcc_lo
	global_load_b64 v[3:4], v[3:4], off slc dlc
	s_waitcnt vmcnt(0)
	v_subrev_nc_u32_e32 v4, s8, v4
	v_subrev_nc_u32_e32 v3, s8, v3
	s_delay_alu instid0(VALU_DEP_2) | instskip(NEXT) | instid1(VALU_DEP_1)
	v_ashrrev_i32_e32 v5, 31, v4
	v_lshlrev_b64 v[4:5], 3, v[4:5]
	s_delay_alu instid0(VALU_DEP_1) | instskip(NEXT) | instid1(VALU_DEP_2)
	v_add_co_u32 v4, vcc_lo, s10, v4
	v_add_co_ci_u32_e32 v5, vcc_lo, s11, v5, vcc_lo
	global_load_b64 v[6:7], v[1:2], off slc dlc
	global_load_b64 v[4:5], v[4:5], off
	s_waitcnt vmcnt(0)
	v_mul_f32_e64 v1, v5, -v7
	v_mul_f32_e32 v2, v6, v5
	s_delay_alu instid0(VALU_DEP_2) | instskip(NEXT) | instid1(VALU_DEP_2)
	v_fmac_f32_e32 v1, v6, v4
	v_fmac_f32_e32 v2, v7, v4
.LBB16_7:
	s_or_b32 exec_lo, exec_lo, s2
	v_lshlrev_b32_e32 v6, 2, v0
	v_lshlrev_b32_e32 v5, 3, v0
	s_mov_b32 s2, exec_lo
	ds_store_b32 v6, v3 offset:2048
	ds_store_b64 v5, v[1:2]
	v_or_b32_e32 v4, 0x800, v6
	s_waitcnt lgkmcnt(0)
	s_barrier
	buffer_gl0_inv
	v_cmpx_ne_u32_e32 0, v0
	s_cbranch_execz .LBB16_11
; %bb.8:
	v_add_nc_u32_e32 v6, -4, v4
	s_mov_b32 s3, exec_lo
	ds_load_b32 v6, v6
	s_waitcnt lgkmcnt(0)
	v_cmpx_eq_u32_e64 v3, v6
	s_cbranch_execz .LBB16_10
; %bb.9:
	v_add_nc_u32_e32 v6, -8, v5
	ds_load_b64 v[6:7], v6
	s_waitcnt lgkmcnt(0)
	v_dual_add_f32 v1, v1, v6 :: v_dual_add_f32 v2, v2, v7
.LBB16_10:
	s_or_b32 exec_lo, exec_lo, s3
.LBB16_11:
	s_delay_alu instid0(SALU_CYCLE_1) | instskip(NEXT) | instid1(SALU_CYCLE_1)
	s_or_b32 exec_lo, exec_lo, s2
	s_mov_b32 s2, exec_lo
	s_barrier
	buffer_gl0_inv
	ds_store_b64 v5, v[1:2]
	s_waitcnt lgkmcnt(0)
	s_barrier
	buffer_gl0_inv
	v_cmpx_lt_u32_e32 1, v0
	s_cbranch_execz .LBB16_15
; %bb.12:
	v_add_nc_u32_e32 v6, -8, v4
	s_mov_b32 s3, exec_lo
	ds_load_b32 v6, v6
	s_waitcnt lgkmcnt(0)
	v_cmpx_eq_u32_e64 v3, v6
	s_cbranch_execz .LBB16_14
; %bb.13:
	v_add_nc_u32_e32 v6, -16, v5
	ds_load_b64 v[6:7], v6
	s_waitcnt lgkmcnt(0)
	v_dual_add_f32 v1, v1, v6 :: v_dual_add_f32 v2, v2, v7
.LBB16_14:
	s_or_b32 exec_lo, exec_lo, s3
.LBB16_15:
	s_delay_alu instid0(SALU_CYCLE_1) | instskip(NEXT) | instid1(SALU_CYCLE_1)
	s_or_b32 exec_lo, exec_lo, s2
	s_mov_b32 s2, exec_lo
	s_barrier
	buffer_gl0_inv
	ds_store_b64 v5, v[1:2]
	s_waitcnt lgkmcnt(0)
	s_barrier
	buffer_gl0_inv
	v_cmpx_lt_u32_e32 3, v0
	s_cbranch_execz .LBB16_19
; %bb.16:
	v_add_nc_u32_e32 v6, -16, v4
	s_mov_b32 s3, exec_lo
	ds_load_b32 v6, v6
	s_waitcnt lgkmcnt(0)
	v_cmpx_eq_u32_e64 v3, v6
	s_cbranch_execz .LBB16_18
; %bb.17:
	v_subrev_nc_u32_e32 v6, 32, v5
	ds_load_b64 v[6:7], v6
	s_waitcnt lgkmcnt(0)
	v_dual_add_f32 v1, v1, v6 :: v_dual_add_f32 v2, v2, v7
.LBB16_18:
	s_or_b32 exec_lo, exec_lo, s3
.LBB16_19:
	s_delay_alu instid0(SALU_CYCLE_1) | instskip(NEXT) | instid1(SALU_CYCLE_1)
	s_or_b32 exec_lo, exec_lo, s2
	s_mov_b32 s2, exec_lo
	s_barrier
	buffer_gl0_inv
	ds_store_b64 v5, v[1:2]
	s_waitcnt lgkmcnt(0)
	s_barrier
	buffer_gl0_inv
	v_cmpx_lt_u32_e32 7, v0
	s_cbranch_execz .LBB16_23
; %bb.20:
	v_subrev_nc_u32_e32 v6, 32, v4
	s_mov_b32 s3, exec_lo
	ds_load_b32 v6, v6
	s_waitcnt lgkmcnt(0)
	v_cmpx_eq_u32_e64 v3, v6
	s_cbranch_execz .LBB16_22
; %bb.21:
	v_subrev_nc_u32_e32 v6, 64, v5
	ds_load_b64 v[6:7], v6
	s_waitcnt lgkmcnt(0)
	v_dual_add_f32 v1, v1, v6 :: v_dual_add_f32 v2, v2, v7
.LBB16_22:
	s_or_b32 exec_lo, exec_lo, s3
.LBB16_23:
	s_delay_alu instid0(SALU_CYCLE_1) | instskip(NEXT) | instid1(SALU_CYCLE_1)
	s_or_b32 exec_lo, exec_lo, s2
	s_mov_b32 s2, exec_lo
	s_barrier
	buffer_gl0_inv
	ds_store_b64 v5, v[1:2]
	s_waitcnt lgkmcnt(0)
	s_barrier
	buffer_gl0_inv
	v_cmpx_lt_u32_e32 15, v0
	s_cbranch_execz .LBB16_27
; %bb.24:
	v_subrev_nc_u32_e32 v6, 64, v4
	s_mov_b32 s3, exec_lo
	ds_load_b32 v6, v6
	s_waitcnt lgkmcnt(0)
	v_cmpx_eq_u32_e64 v3, v6
	s_cbranch_execz .LBB16_26
; %bb.25:
	v_add_nc_u32_e32 v6, 0xffffff80, v5
	ds_load_b64 v[6:7], v6
	s_waitcnt lgkmcnt(0)
	v_dual_add_f32 v1, v1, v6 :: v_dual_add_f32 v2, v2, v7
.LBB16_26:
	s_or_b32 exec_lo, exec_lo, s3
.LBB16_27:
	s_delay_alu instid0(SALU_CYCLE_1) | instskip(NEXT) | instid1(SALU_CYCLE_1)
	s_or_b32 exec_lo, exec_lo, s2
	s_mov_b32 s2, exec_lo
	s_barrier
	buffer_gl0_inv
	ds_store_b64 v5, v[1:2]
	s_waitcnt lgkmcnt(0)
	s_barrier
	buffer_gl0_inv
	v_cmpx_lt_u32_e32 31, v0
	s_cbranch_execz .LBB16_31
; %bb.28:
	v_add_nc_u32_e32 v6, 0xffffff80, v4
	s_mov_b32 s3, exec_lo
	ds_load_b32 v6, v6
	s_waitcnt lgkmcnt(0)
	v_cmpx_eq_u32_e64 v3, v6
	s_cbranch_execz .LBB16_30
; %bb.29:
	v_add_nc_u32_e32 v6, 0xffffff00, v5
	ds_load_b64 v[6:7], v6
	s_waitcnt lgkmcnt(0)
	v_dual_add_f32 v1, v1, v6 :: v_dual_add_f32 v2, v2, v7
.LBB16_30:
	s_or_b32 exec_lo, exec_lo, s3
.LBB16_31:
	s_delay_alu instid0(SALU_CYCLE_1) | instskip(NEXT) | instid1(SALU_CYCLE_1)
	s_or_b32 exec_lo, exec_lo, s2
	s_mov_b32 s2, exec_lo
	s_barrier
	buffer_gl0_inv
	ds_store_b64 v5, v[1:2]
	s_waitcnt lgkmcnt(0)
	s_barrier
	buffer_gl0_inv
	v_cmpx_lt_u32_e32 63, v0
	s_cbranch_execz .LBB16_35
; %bb.32:
	v_add_nc_u32_e32 v6, 0xffffff00, v4
	s_mov_b32 s3, exec_lo
	ds_load_b32 v6, v6
	s_waitcnt lgkmcnt(0)
	v_cmpx_eq_u32_e64 v3, v6
	s_cbranch_execz .LBB16_34
; %bb.33:
	v_add_nc_u32_e32 v6, 0xfffffe00, v5
	ds_load_b64 v[6:7], v6
	s_waitcnt lgkmcnt(0)
	v_dual_add_f32 v1, v1, v6 :: v_dual_add_f32 v2, v2, v7
.LBB16_34:
	s_or_b32 exec_lo, exec_lo, s3
.LBB16_35:
	s_delay_alu instid0(SALU_CYCLE_1)
	s_or_b32 exec_lo, exec_lo, s2
	s_load_b64 s[2:3], s[0:1], 0x28
	s_mov_b32 s0, exec_lo
	s_waitcnt lgkmcnt(0)
	s_barrier
	buffer_gl0_inv
	ds_store_b64 v5, v[1:2]
	s_waitcnt lgkmcnt(0)
	s_barrier
	buffer_gl0_inv
	v_cmpx_lt_u32_e32 0x7f, v0
	s_cbranch_execz .LBB16_39
; %bb.36:
	v_add_nc_u32_e32 v6, 0xfffffe00, v4
	s_mov_b32 s1, exec_lo
	ds_load_b32 v6, v6
	s_waitcnt lgkmcnt(0)
	v_cmpx_eq_u32_e64 v3, v6
	s_cbranch_execz .LBB16_38
; %bb.37:
	v_add_nc_u32_e32 v6, 0xfffffc00, v5
	ds_load_b64 v[6:7], v6
	s_waitcnt lgkmcnt(0)
	v_dual_add_f32 v1, v1, v6 :: v_dual_add_f32 v2, v2, v7
.LBB16_38:
	s_or_b32 exec_lo, exec_lo, s1
.LBB16_39:
	s_delay_alu instid0(SALU_CYCLE_1) | instskip(NEXT) | instid1(SALU_CYCLE_1)
	s_or_b32 exec_lo, exec_lo, s0
	s_mov_b32 s1, exec_lo
	s_barrier
	buffer_gl0_inv
	ds_store_b64 v5, v[1:2]
	s_waitcnt lgkmcnt(0)
	s_barrier
	buffer_gl0_inv
	v_cmpx_gt_u32_e32 0xff, v0
	s_cbranch_execz .LBB16_45
; %bb.40:
	ds_load_b32 v4, v4 offset:4
	v_cmp_lt_i32_e64 s0, -1, v3
	s_waitcnt lgkmcnt(0)
	v_cmp_ne_u32_e32 vcc_lo, v3, v4
	s_delay_alu instid0(VALU_DEP_2) | instskip(NEXT) | instid1(SALU_CYCLE_1)
	s_and_b32 s0, s0, vcc_lo
	s_and_b32 exec_lo, exec_lo, s0
	s_cbranch_execz .LBB16_45
; %bb.41:
	v_mov_b32_e32 v4, 0
	v_mul_f32_e64 v10, v2, -v9
	s_mov_b32 s0, 0
	s_delay_alu instid0(VALU_DEP_2) | instskip(NEXT) | instid1(VALU_DEP_2)
	v_lshlrev_b64 v[4:5], 3, v[3:4]
	v_fmac_f32_e32 v10, v8, v1
	s_delay_alu instid0(VALU_DEP_2) | instskip(NEXT) | instid1(VALU_DEP_3)
	v_add_co_u32 v4, vcc_lo, s2, v4
	v_add_co_ci_u32_e32 v5, vcc_lo, s3, v5, vcc_lo
	global_load_b32 v7, v[4:5], off
.LBB16_42:                              ; =>This Inner Loop Header: Depth=1
	s_waitcnt vmcnt(0)
	v_add_f32_e32 v6, v7, v10
	global_atomic_cmpswap_b32 v6, v[4:5], v[6:7], off glc
	s_waitcnt vmcnt(0)
	v_cmp_eq_u32_e32 vcc_lo, v6, v7
	v_mov_b32_e32 v7, v6
	s_or_b32 s0, vcc_lo, s0
	s_delay_alu instid0(SALU_CYCLE_1)
	s_and_not1_b32 exec_lo, exec_lo, s0
	s_cbranch_execnz .LBB16_42
; %bb.43:
	s_or_b32 exec_lo, exec_lo, s0
	global_load_b32 v7, v[4:5], off offset:4
	v_mul_f32_e32 v10, v8, v2
	s_mov_b32 s0, 0
	s_delay_alu instid0(VALU_DEP_1)
	v_fmac_f32_e32 v10, v9, v1
.LBB16_44:                              ; =>This Inner Loop Header: Depth=1
	s_waitcnt vmcnt(0)
	s_delay_alu instid0(VALU_DEP_1)
	v_add_f32_e32 v6, v7, v10
	global_atomic_cmpswap_b32 v6, v[4:5], v[6:7], off offset:4 glc
	s_waitcnt vmcnt(0)
	v_cmp_eq_u32_e32 vcc_lo, v6, v7
	v_mov_b32_e32 v7, v6
	s_or_b32 s0, vcc_lo, s0
	s_delay_alu instid0(SALU_CYCLE_1)
	s_and_not1_b32 exec_lo, exec_lo, s0
	s_cbranch_execnz .LBB16_44
.LBB16_45:
	s_or_b32 exec_lo, exec_lo, s1
	v_cmp_eq_u32_e32 vcc_lo, 0xff, v0
	v_cmp_lt_i32_e64 s0, -1, v3
	s_delay_alu instid0(VALU_DEP_1) | instskip(NEXT) | instid1(SALU_CYCLE_1)
	s_and_b32 s0, vcc_lo, s0
	s_and_b32 exec_lo, exec_lo, s0
	s_cbranch_execz .LBB16_50
; %bb.46:
	v_mov_b32_e32 v4, 0
	v_mul_f32_e64 v0, v2, -v9
	s_mov_b32 s0, 0
	s_delay_alu instid0(VALU_DEP_2) | instskip(NEXT) | instid1(VALU_DEP_2)
	v_lshlrev_b64 v[3:4], 3, v[3:4]
	v_fmac_f32_e32 v0, v8, v1
	s_delay_alu instid0(VALU_DEP_2) | instskip(NEXT) | instid1(VALU_DEP_3)
	v_add_co_u32 v3, vcc_lo, s2, v3
	v_add_co_ci_u32_e32 v4, vcc_lo, s3, v4, vcc_lo
	global_load_b32 v6, v[3:4], off
.LBB16_47:                              ; =>This Inner Loop Header: Depth=1
	s_waitcnt vmcnt(0)
	v_add_f32_e32 v5, v6, v0
	global_atomic_cmpswap_b32 v5, v[3:4], v[5:6], off glc
	s_waitcnt vmcnt(0)
	v_cmp_eq_u32_e32 vcc_lo, v5, v6
	v_mov_b32_e32 v6, v5
	s_or_b32 s0, vcc_lo, s0
	s_delay_alu instid0(SALU_CYCLE_1)
	s_and_not1_b32 exec_lo, exec_lo, s0
	s_cbranch_execnz .LBB16_47
; %bb.48:
	s_or_b32 exec_lo, exec_lo, s0
	global_load_b32 v6, v[3:4], off offset:4
	v_mul_f32_e32 v0, v8, v2
	s_mov_b32 s0, 0
	s_delay_alu instid0(VALU_DEP_1)
	v_fmac_f32_e32 v0, v9, v1
.LBB16_49:                              ; =>This Inner Loop Header: Depth=1
	s_waitcnt vmcnt(0)
	s_delay_alu instid0(VALU_DEP_1)
	v_add_f32_e32 v5, v6, v0
	global_atomic_cmpswap_b32 v1, v[3:4], v[5:6], off offset:4 glc
	s_waitcnt vmcnt(0)
	v_cmp_eq_u32_e32 vcc_lo, v1, v6
	v_mov_b32_e32 v6, v1
	s_or_b32 s0, vcc_lo, s0
	s_delay_alu instid0(SALU_CYCLE_1)
	s_and_not1_b32 exec_lo, exec_lo, s0
	s_cbranch_execnz .LBB16_49
.LBB16_50:
	s_endpgm
	.section	.rodata,"a",@progbits
	.p2align	6, 0x0
	.amdhsa_kernel _ZN9rocsparseL23coomvn_aos_atomic_loopsILj256ELj1Ei21rocsparse_complex_numIfES2_S2_S2_EEvlNS_24const_host_device_scalarIT5_EEPKT1_PKT2_PKT3_PT4_21rocsparse_index_base_b
		.amdhsa_group_segment_fixed_size 3072
		.amdhsa_private_segment_fixed_size 0
		.amdhsa_kernarg_size 56
		.amdhsa_user_sgpr_count 15
		.amdhsa_user_sgpr_dispatch_ptr 0
		.amdhsa_user_sgpr_queue_ptr 0
		.amdhsa_user_sgpr_kernarg_segment_ptr 1
		.amdhsa_user_sgpr_dispatch_id 0
		.amdhsa_user_sgpr_private_segment_size 0
		.amdhsa_wavefront_size32 1
		.amdhsa_uses_dynamic_stack 0
		.amdhsa_enable_private_segment 0
		.amdhsa_system_sgpr_workgroup_id_x 1
		.amdhsa_system_sgpr_workgroup_id_y 0
		.amdhsa_system_sgpr_workgroup_id_z 0
		.amdhsa_system_sgpr_workgroup_info 0
		.amdhsa_system_vgpr_workitem_id 0
		.amdhsa_next_free_vgpr 11
		.amdhsa_next_free_sgpr 16
		.amdhsa_reserve_vcc 1
		.amdhsa_float_round_mode_32 0
		.amdhsa_float_round_mode_16_64 0
		.amdhsa_float_denorm_mode_32 3
		.amdhsa_float_denorm_mode_16_64 3
		.amdhsa_dx10_clamp 1
		.amdhsa_ieee_mode 1
		.amdhsa_fp16_overflow 0
		.amdhsa_workgroup_processor_mode 1
		.amdhsa_memory_ordered 1
		.amdhsa_forward_progress 0
		.amdhsa_shared_vgpr_count 0
		.amdhsa_exception_fp_ieee_invalid_op 0
		.amdhsa_exception_fp_denorm_src 0
		.amdhsa_exception_fp_ieee_div_zero 0
		.amdhsa_exception_fp_ieee_overflow 0
		.amdhsa_exception_fp_ieee_underflow 0
		.amdhsa_exception_fp_ieee_inexact 0
		.amdhsa_exception_int_div_zero 0
	.end_amdhsa_kernel
	.section	.text._ZN9rocsparseL23coomvn_aos_atomic_loopsILj256ELj1Ei21rocsparse_complex_numIfES2_S2_S2_EEvlNS_24const_host_device_scalarIT5_EEPKT1_PKT2_PKT3_PT4_21rocsparse_index_base_b,"axG",@progbits,_ZN9rocsparseL23coomvn_aos_atomic_loopsILj256ELj1Ei21rocsparse_complex_numIfES2_S2_S2_EEvlNS_24const_host_device_scalarIT5_EEPKT1_PKT2_PKT3_PT4_21rocsparse_index_base_b,comdat
.Lfunc_end16:
	.size	_ZN9rocsparseL23coomvn_aos_atomic_loopsILj256ELj1Ei21rocsparse_complex_numIfES2_S2_S2_EEvlNS_24const_host_device_scalarIT5_EEPKT1_PKT2_PKT3_PT4_21rocsparse_index_base_b, .Lfunc_end16-_ZN9rocsparseL23coomvn_aos_atomic_loopsILj256ELj1Ei21rocsparse_complex_numIfES2_S2_S2_EEvlNS_24const_host_device_scalarIT5_EEPKT1_PKT2_PKT3_PT4_21rocsparse_index_base_b
                                        ; -- End function
	.section	.AMDGPU.csdata,"",@progbits
; Kernel info:
; codeLenInByte = 1808
; NumSgprs: 18
; NumVgprs: 11
; ScratchSize: 0
; MemoryBound: 0
; FloatMode: 240
; IeeeMode: 1
; LDSByteSize: 3072 bytes/workgroup (compile time only)
; SGPRBlocks: 2
; VGPRBlocks: 1
; NumSGPRsForWavesPerEU: 18
; NumVGPRsForWavesPerEU: 11
; Occupancy: 16
; WaveLimiterHint : 1
; COMPUTE_PGM_RSRC2:SCRATCH_EN: 0
; COMPUTE_PGM_RSRC2:USER_SGPR: 15
; COMPUTE_PGM_RSRC2:TRAP_HANDLER: 0
; COMPUTE_PGM_RSRC2:TGID_X_EN: 1
; COMPUTE_PGM_RSRC2:TGID_Y_EN: 0
; COMPUTE_PGM_RSRC2:TGID_Z_EN: 0
; COMPUTE_PGM_RSRC2:TIDIG_COMP_CNT: 0
	.section	.text._ZN9rocsparseL17coomvt_aos_kernelILj1024Ei21rocsparse_complex_numIfES2_S2_S2_EEv20rocsparse_operation_lNS_24const_host_device_scalarIT4_EEPKT0_PKT1_PKT2_PT3_21rocsparse_index_base_b,"axG",@progbits,_ZN9rocsparseL17coomvt_aos_kernelILj1024Ei21rocsparse_complex_numIfES2_S2_S2_EEv20rocsparse_operation_lNS_24const_host_device_scalarIT4_EEPKT0_PKT1_PKT2_PT3_21rocsparse_index_base_b,comdat
	.globl	_ZN9rocsparseL17coomvt_aos_kernelILj1024Ei21rocsparse_complex_numIfES2_S2_S2_EEv20rocsparse_operation_lNS_24const_host_device_scalarIT4_EEPKT0_PKT1_PKT2_PT3_21rocsparse_index_base_b ; -- Begin function _ZN9rocsparseL17coomvt_aos_kernelILj1024Ei21rocsparse_complex_numIfES2_S2_S2_EEv20rocsparse_operation_lNS_24const_host_device_scalarIT4_EEPKT0_PKT1_PKT2_PT3_21rocsparse_index_base_b
	.p2align	8
	.type	_ZN9rocsparseL17coomvt_aos_kernelILj1024Ei21rocsparse_complex_numIfES2_S2_S2_EEv20rocsparse_operation_lNS_24const_host_device_scalarIT4_EEPKT0_PKT1_PKT2_PT3_21rocsparse_index_base_b,@function
_ZN9rocsparseL17coomvt_aos_kernelILj1024Ei21rocsparse_complex_numIfES2_S2_S2_EEv20rocsparse_operation_lNS_24const_host_device_scalarIT4_EEPKT0_PKT1_PKT2_PT3_21rocsparse_index_base_b: ; @_ZN9rocsparseL17coomvt_aos_kernelILj1024Ei21rocsparse_complex_numIfES2_S2_S2_EEv20rocsparse_operation_lNS_24const_host_device_scalarIT4_EEPKT0_PKT1_PKT2_PT3_21rocsparse_index_base_b
; %bb.0:
	s_clause 0x2
	s_load_b64 s[12:13], s[0:1], 0x38
	s_load_b64 s[2:3], s[0:1], 0x10
	s_load_b128 s[4:7], s[0:1], 0x8
	s_waitcnt lgkmcnt(0)
	s_bitcmp1_b32 s13, 0
	v_mov_b32_e32 v4, s2
	s_cselect_b32 s8, -1, 0
	s_delay_alu instid0(SALU_CYCLE_1)
	s_and_b32 vcc_lo, exec_lo, s8
	s_xor_b32 s2, s8, -1
	s_cbranch_vccnz .LBB17_2
; %bb.1:
	v_dual_mov_b32 v1, s6 :: v_dual_mov_b32 v2, s7
	flat_load_b32 v4, v[1:2]
.LBB17_2:
	v_mov_b32_e32 v6, s3
	s_and_not1_b32 vcc_lo, exec_lo, s2
	s_cbranch_vccnz .LBB17_4
; %bb.3:
	v_dual_mov_b32 v1, s6 :: v_dual_mov_b32 v2, s7
	flat_load_b32 v6, v[1:2] offset:4
.LBB17_4:
	s_waitcnt vmcnt(0) lgkmcnt(0)
	v_cmp_neq_f32_e32 vcc_lo, 0, v4
	v_cmp_neq_f32_e64 s2, 0, v6
	s_delay_alu instid0(VALU_DEP_1) | instskip(NEXT) | instid1(SALU_CYCLE_1)
	s_or_b32 s2, vcc_lo, s2
	s_and_saveexec_b32 s3, s2
	s_cbranch_execz .LBB17_10
; %bb.5:
	s_load_b32 s2, s[0:1], 0x4c
	s_waitcnt lgkmcnt(0)
	s_and_b32 s2, s2, 0xffff
	s_delay_alu instid0(SALU_CYCLE_1) | instskip(SKIP_1) | instid1(VALU_DEP_1)
	v_mad_u64_u32 v[1:2], null, s15, s2, v[0:1]
	v_mov_b32_e32 v2, 0
	v_cmp_gt_i64_e32 vcc_lo, s[4:5], v[1:2]
	s_and_b32 exec_lo, exec_lo, vcc_lo
	s_cbranch_execz .LBB17_10
; %bb.6:
	s_load_b256 s[4:11], s[0:1], 0x18
	v_lshlrev_b64 v[0:1], 3, v[1:2]
	s_load_b32 s0, s[0:1], 0x0
	s_waitcnt lgkmcnt(0)
	s_delay_alu instid0(VALU_DEP_1) | instskip(NEXT) | instid1(VALU_DEP_2)
	v_add_co_u32 v2, vcc_lo, s4, v0
	v_add_co_ci_u32_e32 v3, vcc_lo, s5, v1, vcc_lo
	v_add_co_u32 v0, vcc_lo, s6, v0
	v_add_co_ci_u32_e32 v1, vcc_lo, s7, v1, vcc_lo
	global_load_b64 v[2:3], v[2:3], off
	s_cmpk_eq_i32 s0, 0x71
	global_load_b64 v[9:10], v[0:1], off
	s_cselect_b32 s0, -1, 0
	s_waitcnt vmcnt(1)
	v_subrev_nc_u32_e32 v7, s12, v2
	v_subrev_nc_u32_e32 v0, s12, v3
	s_delay_alu instid0(VALU_DEP_2) | instskip(NEXT) | instid1(VALU_DEP_2)
	v_ashrrev_i32_e32 v8, 31, v7
	v_ashrrev_i32_e32 v1, 31, v0
	s_delay_alu instid0(VALU_DEP_2) | instskip(NEXT) | instid1(VALU_DEP_2)
	v_lshlrev_b64 v[2:3], 3, v[7:8]
	v_lshlrev_b64 v[0:1], 3, v[0:1]
	s_waitcnt vmcnt(0)
	v_cndmask_b32_e64 v8, v10, -v10, s0
	s_mov_b32 s0, 0
	s_delay_alu instid0(VALU_DEP_3)
	v_add_co_u32 v2, vcc_lo, s8, v2
	v_add_co_ci_u32_e32 v3, vcc_lo, s9, v3, vcc_lo
	v_add_co_u32 v0, vcc_lo, s10, v0
	v_add_co_ci_u32_e32 v1, vcc_lo, s11, v1, vcc_lo
	global_load_b64 v[2:3], v[2:3], off
	v_mul_f32_e32 v7, v4, v8
	v_mul_f32_e64 v8, v8, -v6
	global_load_b32 v5, v[0:1], off
	v_fmac_f32_e32 v8, v4, v9
	v_fmac_f32_e32 v7, v6, v9
	s_waitcnt vmcnt(1)
	s_delay_alu instid0(VALU_DEP_1) | instskip(NEXT) | instid1(VALU_DEP_1)
	v_mul_f32_e64 v6, v3, -v7
	v_fmac_f32_e32 v6, v8, v2
.LBB17_7:                               ; =>This Inner Loop Header: Depth=1
	s_waitcnt vmcnt(0)
	s_delay_alu instid0(VALU_DEP_1)
	v_add_f32_e32 v4, v5, v6
	global_atomic_cmpswap_b32 v4, v[0:1], v[4:5], off glc
	s_waitcnt vmcnt(0)
	v_cmp_eq_u32_e32 vcc_lo, v4, v5
	v_mov_b32_e32 v5, v4
	s_or_b32 s0, vcc_lo, s0
	s_delay_alu instid0(SALU_CYCLE_1)
	s_and_not1_b32 exec_lo, exec_lo, s0
	s_cbranch_execnz .LBB17_7
; %bb.8:
	s_or_b32 exec_lo, exec_lo, s0
	global_load_b32 v4, v[0:1], off offset:4
	v_mul_f32_e32 v5, v8, v3
	s_mov_b32 s0, 0
	s_delay_alu instid0(VALU_DEP_1)
	v_fmac_f32_e32 v5, v7, v2
.LBB17_9:                               ; =>This Inner Loop Header: Depth=1
	s_waitcnt vmcnt(0)
	s_delay_alu instid0(VALU_DEP_1)
	v_add_f32_e32 v3, v4, v5
	global_atomic_cmpswap_b32 v2, v[0:1], v[3:4], off offset:4 glc
	s_waitcnt vmcnt(0)
	v_cmp_eq_u32_e32 vcc_lo, v2, v4
	v_mov_b32_e32 v4, v2
	s_or_b32 s0, vcc_lo, s0
	s_delay_alu instid0(SALU_CYCLE_1)
	s_and_not1_b32 exec_lo, exec_lo, s0
	s_cbranch_execnz .LBB17_9
.LBB17_10:
	s_endpgm
	.section	.rodata,"a",@progbits
	.p2align	6, 0x0
	.amdhsa_kernel _ZN9rocsparseL17coomvt_aos_kernelILj1024Ei21rocsparse_complex_numIfES2_S2_S2_EEv20rocsparse_operation_lNS_24const_host_device_scalarIT4_EEPKT0_PKT1_PKT2_PT3_21rocsparse_index_base_b
		.amdhsa_group_segment_fixed_size 0
		.amdhsa_private_segment_fixed_size 0
		.amdhsa_kernarg_size 320
		.amdhsa_user_sgpr_count 15
		.amdhsa_user_sgpr_dispatch_ptr 0
		.amdhsa_user_sgpr_queue_ptr 0
		.amdhsa_user_sgpr_kernarg_segment_ptr 1
		.amdhsa_user_sgpr_dispatch_id 0
		.amdhsa_user_sgpr_private_segment_size 0
		.amdhsa_wavefront_size32 1
		.amdhsa_uses_dynamic_stack 0
		.amdhsa_enable_private_segment 0
		.amdhsa_system_sgpr_workgroup_id_x 1
		.amdhsa_system_sgpr_workgroup_id_y 0
		.amdhsa_system_sgpr_workgroup_id_z 0
		.amdhsa_system_sgpr_workgroup_info 0
		.amdhsa_system_vgpr_workitem_id 0
		.amdhsa_next_free_vgpr 11
		.amdhsa_next_free_sgpr 16
		.amdhsa_reserve_vcc 1
		.amdhsa_float_round_mode_32 0
		.amdhsa_float_round_mode_16_64 0
		.amdhsa_float_denorm_mode_32 3
		.amdhsa_float_denorm_mode_16_64 3
		.amdhsa_dx10_clamp 1
		.amdhsa_ieee_mode 1
		.amdhsa_fp16_overflow 0
		.amdhsa_workgroup_processor_mode 1
		.amdhsa_memory_ordered 1
		.amdhsa_forward_progress 0
		.amdhsa_shared_vgpr_count 0
		.amdhsa_exception_fp_ieee_invalid_op 0
		.amdhsa_exception_fp_denorm_src 0
		.amdhsa_exception_fp_ieee_div_zero 0
		.amdhsa_exception_fp_ieee_overflow 0
		.amdhsa_exception_fp_ieee_underflow 0
		.amdhsa_exception_fp_ieee_inexact 0
		.amdhsa_exception_int_div_zero 0
	.end_amdhsa_kernel
	.section	.text._ZN9rocsparseL17coomvt_aos_kernelILj1024Ei21rocsparse_complex_numIfES2_S2_S2_EEv20rocsparse_operation_lNS_24const_host_device_scalarIT4_EEPKT0_PKT1_PKT2_PT3_21rocsparse_index_base_b,"axG",@progbits,_ZN9rocsparseL17coomvt_aos_kernelILj1024Ei21rocsparse_complex_numIfES2_S2_S2_EEv20rocsparse_operation_lNS_24const_host_device_scalarIT4_EEPKT0_PKT1_PKT2_PT3_21rocsparse_index_base_b,comdat
.Lfunc_end17:
	.size	_ZN9rocsparseL17coomvt_aos_kernelILj1024Ei21rocsparse_complex_numIfES2_S2_S2_EEv20rocsparse_operation_lNS_24const_host_device_scalarIT4_EEPKT0_PKT1_PKT2_PT3_21rocsparse_index_base_b, .Lfunc_end17-_ZN9rocsparseL17coomvt_aos_kernelILj1024Ei21rocsparse_complex_numIfES2_S2_S2_EEv20rocsparse_operation_lNS_24const_host_device_scalarIT4_EEPKT0_PKT1_PKT2_PT3_21rocsparse_index_base_b
                                        ; -- End function
	.section	.AMDGPU.csdata,"",@progbits
; Kernel info:
; codeLenInByte = 536
; NumSgprs: 18
; NumVgprs: 11
; ScratchSize: 0
; MemoryBound: 0
; FloatMode: 240
; IeeeMode: 1
; LDSByteSize: 0 bytes/workgroup (compile time only)
; SGPRBlocks: 2
; VGPRBlocks: 1
; NumSGPRsForWavesPerEU: 18
; NumVGPRsForWavesPerEU: 11
; Occupancy: 16
; WaveLimiterHint : 1
; COMPUTE_PGM_RSRC2:SCRATCH_EN: 0
; COMPUTE_PGM_RSRC2:USER_SGPR: 15
; COMPUTE_PGM_RSRC2:TRAP_HANDLER: 0
; COMPUTE_PGM_RSRC2:TGID_X_EN: 1
; COMPUTE_PGM_RSRC2:TGID_Y_EN: 0
; COMPUTE_PGM_RSRC2:TGID_Z_EN: 0
; COMPUTE_PGM_RSRC2:TIDIG_COMP_CNT: 0
	.section	.text._ZN9rocsparseL26coomvn_aos_segmented_loopsILj256Ei21rocsparse_complex_numIfES2_S2_S2_EEvlT0_NS_24const_host_device_scalarIT4_EEPKS3_PKT1_PKT2_PT3_PS3_PS5_21rocsparse_index_base_b,"axG",@progbits,_ZN9rocsparseL26coomvn_aos_segmented_loopsILj256Ei21rocsparse_complex_numIfES2_S2_S2_EEvlT0_NS_24const_host_device_scalarIT4_EEPKS3_PKT1_PKT2_PT3_PS3_PS5_21rocsparse_index_base_b,comdat
	.globl	_ZN9rocsparseL26coomvn_aos_segmented_loopsILj256Ei21rocsparse_complex_numIfES2_S2_S2_EEvlT0_NS_24const_host_device_scalarIT4_EEPKS3_PKT1_PKT2_PT3_PS3_PS5_21rocsparse_index_base_b ; -- Begin function _ZN9rocsparseL26coomvn_aos_segmented_loopsILj256Ei21rocsparse_complex_numIfES2_S2_S2_EEvlT0_NS_24const_host_device_scalarIT4_EEPKS3_PKT1_PKT2_PT3_PS3_PS5_21rocsparse_index_base_b
	.p2align	8
	.type	_ZN9rocsparseL26coomvn_aos_segmented_loopsILj256Ei21rocsparse_complex_numIfES2_S2_S2_EEvlT0_NS_24const_host_device_scalarIT4_EEPKS3_PKT1_PKT2_PT3_PS3_PS5_21rocsparse_index_base_b,@function
_ZN9rocsparseL26coomvn_aos_segmented_loopsILj256Ei21rocsparse_complex_numIfES2_S2_S2_EEvlT0_NS_24const_host_device_scalarIT4_EEPKS3_PKT1_PKT2_PT3_PS3_PS5_21rocsparse_index_base_b: ; @_ZN9rocsparseL26coomvn_aos_segmented_loopsILj256Ei21rocsparse_complex_numIfES2_S2_S2_EEvlT0_NS_24const_host_device_scalarIT4_EEPKS3_PKT1_PKT2_PT3_PS3_PS5_21rocsparse_index_base_b
; %bb.0:
	s_clause 0x1
	s_load_b64 s[22:23], s[0:1], 0x48
	s_load_b64 s[2:3], s[0:1], 0x10
	s_mov_b32 s20, s15
	s_waitcnt lgkmcnt(0)
	s_bitcmp1_b32 s23, 0
	v_mov_b32_e32 v12, s2
	s_cselect_b32 s4, -1, 0
	s_delay_alu instid0(SALU_CYCLE_1)
	s_and_b32 vcc_lo, exec_lo, s4
	s_xor_b32 s4, s4, -1
	s_cbranch_vccnz .LBB18_2
; %bb.1:
	v_dual_mov_b32 v1, s2 :: v_dual_mov_b32 v2, s3
	flat_load_b32 v12, v[1:2]
.LBB18_2:
	v_mov_b32_e32 v13, s3
	s_and_not1_b32 vcc_lo, exec_lo, s4
	s_cbranch_vccnz .LBB18_4
; %bb.3:
	v_dual_mov_b32 v1, s2 :: v_dual_mov_b32 v2, s3
	flat_load_b32 v13, v[1:2] offset:4
.LBB18_4:
	s_waitcnt vmcnt(0) lgkmcnt(0)
	v_cmp_neq_f32_e32 vcc_lo, 0, v12
	v_cmp_neq_f32_e64 s2, 0, v13
	s_delay_alu instid0(VALU_DEP_1) | instskip(NEXT) | instid1(SALU_CYCLE_1)
	s_or_b32 s2, vcc_lo, s2
	s_and_saveexec_b32 s3, s2
	s_cbranch_execz .LBB18_91
; %bb.5:
	s_clause 0x3
	s_load_b32 s21, s[0:1], 0x8
	s_load_b64 s[24:25], s[0:1], 0x0
	s_load_b128 s[16:19], s[0:1], 0x18
	s_load_b64 s[28:29], s[0:1], 0x28
	v_dual_mov_b32 v6, 0 :: v_dual_mov_b32 v1, -1
	s_delay_alu instid0(VALU_DEP_1) | instskip(SKIP_3) | instid1(SALU_CYCLE_1)
	v_mov_b32_e32 v3, v6
	v_mov_b32_e32 v4, v6
	s_waitcnt lgkmcnt(0)
	s_mul_i32 s2, s20, s21
	v_lshl_or_b32 v5, s2, 8, v0
	s_mov_b32 s2, exec_lo
	s_delay_alu instid0(VALU_DEP_1)
	v_lshlrev_b64 v[7:8], 3, v[5:6]
	v_cmpx_gt_i64_e64 s[24:25], v[5:6]
	s_cbranch_execz .LBB18_7
; %bb.6:
	s_delay_alu instid0(VALU_DEP_2) | instskip(NEXT) | instid1(VALU_DEP_3)
	v_add_co_u32 v1, vcc_lo, s16, v7
	v_add_co_ci_u32_e32 v2, vcc_lo, s17, v8, vcc_lo
	v_add_co_u32 v9, vcc_lo, s18, v7
	v_add_co_ci_u32_e32 v10, vcc_lo, s19, v8, vcc_lo
	global_load_b64 v[1:2], v[1:2], off slc dlc
	s_ashr_i32 s23, s22, 31
	s_delay_alu instid0(SALU_CYCLE_1) | instskip(SKIP_3) | instid1(VALU_DEP_2)
	s_lshl_b64 s[4:5], s[22:23], 3
	s_waitcnt vmcnt(0)
	v_ashrrev_i32_e32 v3, 31, v2
	v_subrev_nc_u32_e32 v1, s22, v1
	v_lshlrev_b64 v[2:3], 3, v[2:3]
	s_delay_alu instid0(VALU_DEP_1) | instskip(NEXT) | instid1(VALU_DEP_2)
	v_add_co_u32 v2, vcc_lo, s28, v2
	v_add_co_ci_u32_e32 v3, vcc_lo, s29, v3, vcc_lo
	s_delay_alu instid0(VALU_DEP_2) | instskip(NEXT) | instid1(VALU_DEP_2)
	v_sub_co_u32 v2, vcc_lo, v2, s4
	v_subrev_co_ci_u32_e32 v3, vcc_lo, s5, v3, vcc_lo
	global_load_b64 v[9:10], v[9:10], off slc dlc
	global_load_b64 v[14:15], v[2:3], off
	s_waitcnt vmcnt(0)
	v_mul_f32_e64 v3, v15, -v10
	v_mul_f32_e32 v4, v9, v15
	s_delay_alu instid0(VALU_DEP_2) | instskip(NEXT) | instid1(VALU_DEP_2)
	v_fmac_f32_e32 v3, v9, v14
	v_fmac_f32_e32 v4, v10, v14
.LBB18_7:
	s_or_b32 exec_lo, exec_lo, s2
	v_lshlrev_b32_e32 v2, 2, v0
	v_lshlrev_b32_e32 v15, 3, v0
	v_cmp_eq_u32_e32 vcc_lo, 0, v0
	v_cmp_ne_u32_e64 s2, 0, v0
	ds_store_b32 v2, v1 offset:2048
	ds_store_b64 v15, v[3:4]
	v_or_b32_e32 v14, 0x800, v2
	s_waitcnt lgkmcnt(0)
	s_barrier
	buffer_gl0_inv
	v_add_nc_u32_e32 v16, -4, v14
	s_and_saveexec_b32 s4, s2
	s_cbranch_execz .LBB18_11
; %bb.8:
	ds_load_b32 v2, v16
	s_mov_b32 s5, exec_lo
	s_waitcnt lgkmcnt(0)
	v_cmpx_eq_u32_e64 v1, v2
	s_cbranch_execz .LBB18_10
; %bb.9:
	v_add_nc_u32_e32 v2, -8, v15
	ds_load_b64 v[9:10], v2
	s_waitcnt lgkmcnt(0)
	v_dual_add_f32 v3, v3, v9 :: v_dual_add_f32 v4, v4, v10
.LBB18_10:
	s_or_b32 exec_lo, exec_lo, s5
.LBB18_11:
	s_delay_alu instid0(SALU_CYCLE_1)
	s_or_b32 exec_lo, exec_lo, s4
	v_cmp_lt_u32_e64 s3, 1, v0
	v_add_nc_u32_e32 v17, -8, v14
	s_barrier
	buffer_gl0_inv
	ds_store_b64 v15, v[3:4]
	s_waitcnt lgkmcnt(0)
	s_barrier
	buffer_gl0_inv
	s_and_saveexec_b32 s5, s3
	s_cbranch_execz .LBB18_15
; %bb.12:
	ds_load_b32 v2, v17
	s_mov_b32 s6, exec_lo
	s_waitcnt lgkmcnt(0)
	v_cmpx_eq_u32_e64 v1, v2
	s_cbranch_execz .LBB18_14
; %bb.13:
	v_add_nc_u32_e32 v2, -16, v15
	ds_load_b64 v[9:10], v2
	s_waitcnt lgkmcnt(0)
	v_dual_add_f32 v3, v3, v9 :: v_dual_add_f32 v4, v4, v10
.LBB18_14:
	s_or_b32 exec_lo, exec_lo, s6
.LBB18_15:
	s_delay_alu instid0(SALU_CYCLE_1)
	s_or_b32 exec_lo, exec_lo, s5
	v_cmp_lt_u32_e64 s4, 3, v0
	v_add_nc_u32_e32 v18, -16, v14
	s_barrier
	buffer_gl0_inv
	ds_store_b64 v15, v[3:4]
	s_waitcnt lgkmcnt(0)
	s_barrier
	buffer_gl0_inv
	s_and_saveexec_b32 s6, s4
	s_cbranch_execz .LBB18_19
; %bb.16:
	ds_load_b32 v2, v18
	s_mov_b32 s7, exec_lo
	s_waitcnt lgkmcnt(0)
	v_cmpx_eq_u32_e64 v1, v2
	s_cbranch_execz .LBB18_18
; %bb.17:
	v_subrev_nc_u32_e32 v2, 32, v15
	ds_load_b64 v[9:10], v2
	s_waitcnt lgkmcnt(0)
	v_dual_add_f32 v3, v3, v9 :: v_dual_add_f32 v4, v4, v10
.LBB18_18:
	s_or_b32 exec_lo, exec_lo, s7
.LBB18_19:
	s_delay_alu instid0(SALU_CYCLE_1)
	s_or_b32 exec_lo, exec_lo, s6
	v_cmp_lt_u32_e64 s5, 7, v0
	v_subrev_nc_u32_e32 v19, 32, v14
	s_barrier
	buffer_gl0_inv
	ds_store_b64 v15, v[3:4]
	s_waitcnt lgkmcnt(0)
	s_barrier
	buffer_gl0_inv
	s_and_saveexec_b32 s7, s5
	s_cbranch_execz .LBB18_23
; %bb.20:
	ds_load_b32 v2, v19
	s_mov_b32 s8, exec_lo
	s_waitcnt lgkmcnt(0)
	v_cmpx_eq_u32_e64 v1, v2
	s_cbranch_execz .LBB18_22
; %bb.21:
	v_subrev_nc_u32_e32 v2, 64, v15
	ds_load_b64 v[9:10], v2
	s_waitcnt lgkmcnt(0)
	v_dual_add_f32 v3, v3, v9 :: v_dual_add_f32 v4, v4, v10
.LBB18_22:
	s_or_b32 exec_lo, exec_lo, s8
.LBB18_23:
	s_delay_alu instid0(SALU_CYCLE_1)
	s_or_b32 exec_lo, exec_lo, s7
	v_cmp_lt_u32_e64 s6, 15, v0
	v_subrev_nc_u32_e32 v20, 64, v14
	s_barrier
	buffer_gl0_inv
	ds_store_b64 v15, v[3:4]
	s_waitcnt lgkmcnt(0)
	s_barrier
	buffer_gl0_inv
	s_and_saveexec_b32 s8, s6
	s_cbranch_execz .LBB18_27
; %bb.24:
	ds_load_b32 v2, v20
	s_mov_b32 s9, exec_lo
	s_waitcnt lgkmcnt(0)
	v_cmpx_eq_u32_e64 v1, v2
	s_cbranch_execz .LBB18_26
; %bb.25:
	v_add_nc_u32_e32 v2, 0xffffff80, v15
	ds_load_b64 v[9:10], v2
	s_waitcnt lgkmcnt(0)
	v_dual_add_f32 v3, v3, v9 :: v_dual_add_f32 v4, v4, v10
.LBB18_26:
	s_or_b32 exec_lo, exec_lo, s9
.LBB18_27:
	s_delay_alu instid0(SALU_CYCLE_1)
	s_or_b32 exec_lo, exec_lo, s8
	v_cmp_lt_u32_e64 s7, 31, v0
	v_add_nc_u32_e32 v21, 0xffffff80, v14
	s_barrier
	buffer_gl0_inv
	ds_store_b64 v15, v[3:4]
	s_waitcnt lgkmcnt(0)
	s_barrier
	buffer_gl0_inv
	s_and_saveexec_b32 s9, s7
	s_cbranch_execz .LBB18_31
; %bb.28:
	ds_load_b32 v2, v21
	s_mov_b32 s10, exec_lo
	s_waitcnt lgkmcnt(0)
	v_cmpx_eq_u32_e64 v1, v2
	s_cbranch_execz .LBB18_30
; %bb.29:
	v_add_nc_u32_e32 v2, 0xffffff00, v15
	ds_load_b64 v[9:10], v2
	s_waitcnt lgkmcnt(0)
	v_dual_add_f32 v3, v3, v9 :: v_dual_add_f32 v4, v4, v10
.LBB18_30:
	s_or_b32 exec_lo, exec_lo, s10
.LBB18_31:
	s_delay_alu instid0(SALU_CYCLE_1)
	s_or_b32 exec_lo, exec_lo, s9
	v_cmp_lt_u32_e64 s8, 63, v0
	v_add_nc_u32_e32 v22, 0xffffff00, v14
	s_barrier
	buffer_gl0_inv
	ds_store_b64 v15, v[3:4]
	s_waitcnt lgkmcnt(0)
	s_barrier
	buffer_gl0_inv
	s_and_saveexec_b32 s10, s8
	s_cbranch_execz .LBB18_35
; %bb.32:
	ds_load_b32 v2, v22
	s_mov_b32 s11, exec_lo
	s_waitcnt lgkmcnt(0)
	v_cmpx_eq_u32_e64 v1, v2
	s_cbranch_execz .LBB18_34
; %bb.33:
	v_add_nc_u32_e32 v2, 0xfffffe00, v15
	ds_load_b64 v[9:10], v2
	s_waitcnt lgkmcnt(0)
	v_dual_add_f32 v3, v3, v9 :: v_dual_add_f32 v4, v4, v10
.LBB18_34:
	s_or_b32 exec_lo, exec_lo, s11
.LBB18_35:
	s_delay_alu instid0(SALU_CYCLE_1)
	s_or_b32 exec_lo, exec_lo, s10
	s_load_b64 s[26:27], s[0:1], 0x30
	v_cmp_lt_u32_e64 s9, 0x7f, v0
	v_add_nc_u32_e32 v23, 0xfffffe00, v14
	s_waitcnt lgkmcnt(0)
	s_barrier
	buffer_gl0_inv
	ds_store_b64 v15, v[3:4]
	s_waitcnt lgkmcnt(0)
	s_barrier
	buffer_gl0_inv
	s_and_saveexec_b32 s11, s9
	s_cbranch_execz .LBB18_39
; %bb.36:
	ds_load_b32 v2, v23
	s_mov_b32 s12, exec_lo
	s_waitcnt lgkmcnt(0)
	v_cmpx_eq_u32_e64 v1, v2
	s_cbranch_execz .LBB18_38
; %bb.37:
	v_add_nc_u32_e32 v2, 0xfffffc00, v15
	ds_load_b64 v[9:10], v2
	s_waitcnt lgkmcnt(0)
	v_dual_add_f32 v3, v3, v9 :: v_dual_add_f32 v4, v4, v10
.LBB18_38:
	s_or_b32 exec_lo, exec_lo, s12
.LBB18_39:
	s_delay_alu instid0(SALU_CYCLE_1)
	s_or_b32 exec_lo, exec_lo, s11
	v_cmp_gt_u32_e64 s10, 0xff, v0
	s_barrier
	buffer_gl0_inv
	ds_store_b64 v15, v[3:4]
	s_waitcnt lgkmcnt(0)
	s_barrier
	buffer_gl0_inv
	s_and_saveexec_b32 s13, s10
	s_cbranch_execz .LBB18_42
; %bb.40:
	ds_load_b32 v2, v14 offset:4
	v_cmp_lt_i32_e64 s12, -1, v1
	s_waitcnt lgkmcnt(0)
	v_cmp_ne_u32_e64 s11, v1, v2
	s_delay_alu instid0(VALU_DEP_1) | instskip(NEXT) | instid1(SALU_CYCLE_1)
	s_and_b32 s11, s12, s11
	s_and_b32 exec_lo, exec_lo, s11
	s_cbranch_execz .LBB18_42
; %bb.41:
	v_mov_b32_e32 v2, 0
	s_delay_alu instid0(VALU_DEP_1) | instskip(NEXT) | instid1(VALU_DEP_1)
	v_lshlrev_b64 v[9:10], 3, v[1:2]
	v_add_co_u32 v9, s11, s26, v9
	s_delay_alu instid0(VALU_DEP_1) | instskip(SKIP_4) | instid1(VALU_DEP_2)
	v_add_co_ci_u32_e64 v10, s11, s27, v10, s11
	global_load_b64 v[24:25], v[9:10], off
	s_waitcnt vmcnt(0)
	v_fmac_f32_e32 v25, v13, v3
	v_fma_f32 v2, v12, v3, v24
	v_fmac_f32_e32 v25, v12, v4
	s_delay_alu instid0(VALU_DEP_2)
	v_fma_f32 v24, -v13, v4, v2
	global_store_b64 v[9:10], v[24:25], off
.LBB18_42:
	s_or_b32 exec_lo, exec_lo, s13
	s_load_b128 s[12:15], s[0:1], 0x38
	s_cmp_lt_i32 s21, 2
	s_cbranch_scc1 .LBB18_89
; %bb.43:
	s_ashr_i32 s23, s22, 31
	v_add_nc_u32_e32 v24, -8, v15
	s_lshl_b64 s[0:1], s[22:23], 3
	v_add_nc_u32_e32 v25, -16, v15
	s_sub_u32 s11, s28, s0
	v_add_co_u32 v1, s0, 0x800, v7
	s_delay_alu instid0(VALU_DEP_1) | instskip(SKIP_1) | instid1(VALU_DEP_3)
	v_add_co_ci_u32_e64 v2, s0, 0, v8, s0
	v_subrev_nc_u32_e32 v26, 32, v15
	v_add_co_u32 v6, s0, s18, v1
	s_delay_alu instid0(VALU_DEP_1) | instskip(SKIP_1) | instid1(VALU_DEP_1)
	v_add_co_ci_u32_e64 v7, s0, s19, v2, s0
	v_add_co_u32 v8, s0, s16, v1
	v_add_co_ci_u32_e64 v9, s0, s17, v2, s0
	v_mov_b32_e32 v2, 0
	v_add_co_u32 v10, s0, 0x100, v5
	v_subrev_nc_u32_e32 v27, 64, v15
	v_add_nc_u32_e32 v28, 0xffffff80, v15
	v_add_nc_u32_e32 v29, 0xffffff00, v15
	;; [unrolled: 1-line block ×4, first 2 shown]
	v_add_co_ci_u32_e64 v11, null, 0, 0, s0
	s_subb_u32 s18, s29, s1
	s_add_i32 s19, s21, -1
	s_mov_b32 s17, 0
	s_branch .LBB18_45
.LBB18_44:                              ;   in Loop: Header=BB18_45 Depth=1
	s_or_b32 exec_lo, exec_lo, s16
	v_add_co_u32 v6, s0, 0x800, v6
	s_delay_alu instid0(VALU_DEP_1) | instskip(SKIP_1) | instid1(VALU_DEP_1)
	v_add_co_ci_u32_e64 v7, s0, 0, v7, s0
	v_add_co_u32 v8, s0, 0x800, v8
	v_add_co_ci_u32_e64 v9, s0, 0, v9, s0
	v_add_co_u32 v10, s0, 0x100, v10
	s_delay_alu instid0(VALU_DEP_1) | instskip(SKIP_1) | instid1(SALU_CYCLE_1)
	v_add_co_ci_u32_e64 v11, s0, 0, v11, s0
	s_add_i32 s19, s19, -1
	s_cmp_eq_u32 s19, 0
	s_cbranch_scc1 .LBB18_89
.LBB18_45:                              ; =>This Inner Loop Header: Depth=1
	v_dual_mov_b32 v1, -1 :: v_dual_mov_b32 v4, 0
	v_mov_b32_e32 v3, 0
	s_mov_b32 s1, exec_lo
	v_cmpx_gt_i64_e64 s[24:25], v[10:11]
	s_cbranch_execz .LBB18_47
; %bb.46:                               ;   in Loop: Header=BB18_45 Depth=1
	global_load_b64 v[32:33], v[8:9], off slc dlc
	s_waitcnt vmcnt(0)
	v_ashrrev_i32_e32 v4, 31, v33
	v_mov_b32_e32 v3, v33
	v_subrev_nc_u32_e32 v1, s22, v32
	s_delay_alu instid0(VALU_DEP_2) | instskip(NEXT) | instid1(VALU_DEP_1)
	v_lshlrev_b64 v[3:4], 3, v[3:4]
	v_add_co_u32 v3, s0, s11, v3
	s_delay_alu instid0(VALU_DEP_1)
	v_add_co_ci_u32_e64 v4, s0, s18, v4, s0
	global_load_b64 v[33:34], v[6:7], off slc dlc
	global_load_b64 v[35:36], v[3:4], off
	s_waitcnt vmcnt(0)
	v_mul_f32_e64 v3, v36, -v34
	v_mul_f32_e32 v4, v33, v36
	s_delay_alu instid0(VALU_DEP_2) | instskip(NEXT) | instid1(VALU_DEP_2)
	v_fmac_f32_e32 v3, v33, v35
	v_fmac_f32_e32 v4, v34, v35
.LBB18_47:                              ;   in Loop: Header=BB18_45 Depth=1
	s_or_b32 exec_lo, exec_lo, s1
	s_and_saveexec_b32 s1, vcc_lo
	s_cbranch_execz .LBB18_54
; %bb.48:                               ;   in Loop: Header=BB18_45 Depth=1
	ds_load_b32 v5, v2 offset:3068
	s_waitcnt lgkmcnt(0)
	v_readfirstlane_b32 s16, v5
	v_cmp_ne_u32_e64 s0, v1, v5
	s_delay_alu instid0(VALU_DEP_1) | instskip(NEXT) | instid1(SALU_CYCLE_1)
	s_and_saveexec_b32 s21, s0
	s_xor_b32 s0, exec_lo, s21
	s_cbranch_execz .LBB18_51
; %bb.49:                               ;   in Loop: Header=BB18_45 Depth=1
	s_cmp_lt_i32 s16, 0
	s_cbranch_scc1 .LBB18_51
; %bb.50:                               ;   in Loop: Header=BB18_45 Depth=1
	s_lshl_b64 s[28:29], s[16:17], 3
	ds_load_b64 v[34:35], v2 offset:2040
	s_add_u32 s28, s26, s28
	s_addc_u32 s29, s27, s29
	global_load_b64 v[32:33], v2, s[28:29]
	s_waitcnt vmcnt(0) lgkmcnt(0)
	v_fma_f32 v5, v12, v34, v32
	v_fmac_f32_e32 v33, v13, v34
	s_delay_alu instid0(VALU_DEP_2) | instskip(NEXT) | instid1(VALU_DEP_2)
	v_fma_f32 v32, -v13, v35, v5
	v_fmac_f32_e32 v33, v12, v35
	global_store_b64 v2, v[32:33], s[28:29]
.LBB18_51:                              ;   in Loop: Header=BB18_45 Depth=1
	s_and_not1_saveexec_b32 s0, s0
	s_cbranch_execz .LBB18_53
; %bb.52:                               ;   in Loop: Header=BB18_45 Depth=1
	ds_load_b64 v[32:33], v2 offset:2040
	s_waitcnt lgkmcnt(0)
	v_dual_add_f32 v3, v3, v32 :: v_dual_add_f32 v4, v4, v33
.LBB18_53:                              ;   in Loop: Header=BB18_45 Depth=1
	s_or_b32 exec_lo, exec_lo, s0
.LBB18_54:                              ;   in Loop: Header=BB18_45 Depth=1
	s_delay_alu instid0(SALU_CYCLE_1)
	s_or_b32 exec_lo, exec_lo, s1
	s_waitcnt lgkmcnt(0)
	s_waitcnt_vscnt null, 0x0
	s_barrier
	buffer_gl0_inv
	ds_store_b32 v14, v1
	ds_store_b64 v15, v[3:4]
	s_waitcnt lgkmcnt(0)
	s_barrier
	buffer_gl0_inv
	s_and_saveexec_b32 s1, s2
	s_cbranch_execz .LBB18_58
; %bb.55:                               ;   in Loop: Header=BB18_45 Depth=1
	ds_load_b32 v5, v16
	s_mov_b32 s16, exec_lo
	s_waitcnt lgkmcnt(0)
	v_cmpx_eq_u32_e64 v1, v5
	s_cbranch_execz .LBB18_57
; %bb.56:                               ;   in Loop: Header=BB18_45 Depth=1
	ds_load_b64 v[32:33], v24
	s_waitcnt lgkmcnt(0)
	v_dual_add_f32 v3, v3, v32 :: v_dual_add_f32 v4, v4, v33
.LBB18_57:                              ;   in Loop: Header=BB18_45 Depth=1
	s_or_b32 exec_lo, exec_lo, s16
.LBB18_58:                              ;   in Loop: Header=BB18_45 Depth=1
	s_delay_alu instid0(SALU_CYCLE_1)
	s_or_b32 exec_lo, exec_lo, s1
	s_barrier
	buffer_gl0_inv
	ds_store_b64 v15, v[3:4]
	s_waitcnt lgkmcnt(0)
	s_barrier
	buffer_gl0_inv
	s_and_saveexec_b32 s1, s3
	s_cbranch_execz .LBB18_62
; %bb.59:                               ;   in Loop: Header=BB18_45 Depth=1
	ds_load_b32 v5, v17
	s_mov_b32 s16, exec_lo
	s_waitcnt lgkmcnt(0)
	v_cmpx_eq_u32_e64 v1, v5
	s_cbranch_execz .LBB18_61
; %bb.60:                               ;   in Loop: Header=BB18_45 Depth=1
	ds_load_b64 v[32:33], v25
	s_waitcnt lgkmcnt(0)
	v_dual_add_f32 v3, v3, v32 :: v_dual_add_f32 v4, v4, v33
.LBB18_61:                              ;   in Loop: Header=BB18_45 Depth=1
	s_or_b32 exec_lo, exec_lo, s16
.LBB18_62:                              ;   in Loop: Header=BB18_45 Depth=1
	s_delay_alu instid0(SALU_CYCLE_1)
	s_or_b32 exec_lo, exec_lo, s1
	s_barrier
	buffer_gl0_inv
	;; [unrolled: 23-line block ×8, first 2 shown]
	ds_store_b64 v15, v[3:4]
	s_waitcnt lgkmcnt(0)
	s_barrier
	buffer_gl0_inv
	s_and_saveexec_b32 s16, s10
	s_cbranch_execz .LBB18_44
; %bb.87:                               ;   in Loop: Header=BB18_45 Depth=1
	ds_load_b32 v5, v14 offset:4
	v_cmp_lt_i32_e64 s1, -1, v1
	s_waitcnt lgkmcnt(0)
	v_cmp_ne_u32_e64 s0, v1, v5
	s_delay_alu instid0(VALU_DEP_1) | instskip(NEXT) | instid1(SALU_CYCLE_1)
	s_and_b32 s0, s1, s0
	s_and_b32 exec_lo, exec_lo, s0
	s_cbranch_execz .LBB18_44
; %bb.88:                               ;   in Loop: Header=BB18_45 Depth=1
	v_lshlrev_b64 v[32:33], 3, v[1:2]
	s_delay_alu instid0(VALU_DEP_1) | instskip(NEXT) | instid1(VALU_DEP_1)
	v_add_co_u32 v32, s0, s26, v32
	v_add_co_ci_u32_e64 v33, s0, s27, v33, s0
	global_load_b64 v[34:35], v[32:33], off
	s_waitcnt vmcnt(0)
	v_fma_f32 v5, v12, v3, v34
	v_fmac_f32_e32 v35, v13, v3
	s_delay_alu instid0(VALU_DEP_2) | instskip(NEXT) | instid1(VALU_DEP_2)
	v_fma_f32 v34, -v13, v4, v5
	v_fmac_f32_e32 v35, v12, v4
	global_store_b64 v[32:33], v[34:35], off
	s_branch .LBB18_44
.LBB18_89:
	v_cmp_eq_u32_e32 vcc_lo, 0xff, v0
	s_and_b32 exec_lo, exec_lo, vcc_lo
	s_cbranch_execz .LBB18_91
; %bb.90:
	s_mov_b32 s21, 0
	v_mul_f32_e64 v5, v4, -v13
	v_mul_f32_e32 v6, v12, v4
	s_lshl_b64 s[0:1], s[20:21], 2
	v_mov_b32_e32 v0, 0
	s_waitcnt lgkmcnt(0)
	s_add_u32 s0, s12, s0
	v_fmac_f32_e32 v5, v12, v3
	s_addc_u32 s1, s13, s1
	v_fmac_f32_e32 v6, v13, v3
	s_lshl_b64 s[2:3], s[20:21], 3
	s_delay_alu instid0(SALU_CYCLE_1)
	s_add_u32 s2, s14, s2
	s_addc_u32 s3, s15, s3
	s_clause 0x1
	global_store_b32 v0, v1, s[0:1] glc slc dlc
	global_store_b64 v0, v[5:6], s[2:3] glc slc dlc
.LBB18_91:
	s_nop 0
	s_sendmsg sendmsg(MSG_DEALLOC_VGPRS)
	s_endpgm
	.section	.rodata,"a",@progbits
	.p2align	6, 0x0
	.amdhsa_kernel _ZN9rocsparseL26coomvn_aos_segmented_loopsILj256Ei21rocsparse_complex_numIfES2_S2_S2_EEvlT0_NS_24const_host_device_scalarIT4_EEPKS3_PKT1_PKT2_PT3_PS3_PS5_21rocsparse_index_base_b
		.amdhsa_group_segment_fixed_size 3072
		.amdhsa_private_segment_fixed_size 0
		.amdhsa_kernarg_size 80
		.amdhsa_user_sgpr_count 15
		.amdhsa_user_sgpr_dispatch_ptr 0
		.amdhsa_user_sgpr_queue_ptr 0
		.amdhsa_user_sgpr_kernarg_segment_ptr 1
		.amdhsa_user_sgpr_dispatch_id 0
		.amdhsa_user_sgpr_private_segment_size 0
		.amdhsa_wavefront_size32 1
		.amdhsa_uses_dynamic_stack 0
		.amdhsa_enable_private_segment 0
		.amdhsa_system_sgpr_workgroup_id_x 1
		.amdhsa_system_sgpr_workgroup_id_y 0
		.amdhsa_system_sgpr_workgroup_id_z 0
		.amdhsa_system_sgpr_workgroup_info 0
		.amdhsa_system_vgpr_workitem_id 0
		.amdhsa_next_free_vgpr 37
		.amdhsa_next_free_sgpr 30
		.amdhsa_reserve_vcc 1
		.amdhsa_float_round_mode_32 0
		.amdhsa_float_round_mode_16_64 0
		.amdhsa_float_denorm_mode_32 3
		.amdhsa_float_denorm_mode_16_64 3
		.amdhsa_dx10_clamp 1
		.amdhsa_ieee_mode 1
		.amdhsa_fp16_overflow 0
		.amdhsa_workgroup_processor_mode 1
		.amdhsa_memory_ordered 1
		.amdhsa_forward_progress 0
		.amdhsa_shared_vgpr_count 0
		.amdhsa_exception_fp_ieee_invalid_op 0
		.amdhsa_exception_fp_denorm_src 0
		.amdhsa_exception_fp_ieee_div_zero 0
		.amdhsa_exception_fp_ieee_overflow 0
		.amdhsa_exception_fp_ieee_underflow 0
		.amdhsa_exception_fp_ieee_inexact 0
		.amdhsa_exception_int_div_zero 0
	.end_amdhsa_kernel
	.section	.text._ZN9rocsparseL26coomvn_aos_segmented_loopsILj256Ei21rocsparse_complex_numIfES2_S2_S2_EEvlT0_NS_24const_host_device_scalarIT4_EEPKS3_PKT1_PKT2_PT3_PS3_PS5_21rocsparse_index_base_b,"axG",@progbits,_ZN9rocsparseL26coomvn_aos_segmented_loopsILj256Ei21rocsparse_complex_numIfES2_S2_S2_EEvlT0_NS_24const_host_device_scalarIT4_EEPKS3_PKT1_PKT2_PT3_PS3_PS5_21rocsparse_index_base_b,comdat
.Lfunc_end18:
	.size	_ZN9rocsparseL26coomvn_aos_segmented_loopsILj256Ei21rocsparse_complex_numIfES2_S2_S2_EEvlT0_NS_24const_host_device_scalarIT4_EEPKS3_PKT1_PKT2_PT3_PS3_PS5_21rocsparse_index_base_b, .Lfunc_end18-_ZN9rocsparseL26coomvn_aos_segmented_loopsILj256Ei21rocsparse_complex_numIfES2_S2_S2_EEvlT0_NS_24const_host_device_scalarIT4_EEPKS3_PKT1_PKT2_PT3_PS3_PS5_21rocsparse_index_base_b
                                        ; -- End function
	.section	.AMDGPU.csdata,"",@progbits
; Kernel info:
; codeLenInByte = 3268
; NumSgprs: 32
; NumVgprs: 37
; ScratchSize: 0
; MemoryBound: 0
; FloatMode: 240
; IeeeMode: 1
; LDSByteSize: 3072 bytes/workgroup (compile time only)
; SGPRBlocks: 3
; VGPRBlocks: 4
; NumSGPRsForWavesPerEU: 32
; NumVGPRsForWavesPerEU: 37
; Occupancy: 16
; WaveLimiterHint : 1
; COMPUTE_PGM_RSRC2:SCRATCH_EN: 0
; COMPUTE_PGM_RSRC2:USER_SGPR: 15
; COMPUTE_PGM_RSRC2:TRAP_HANDLER: 0
; COMPUTE_PGM_RSRC2:TGID_X_EN: 1
; COMPUTE_PGM_RSRC2:TGID_Y_EN: 0
; COMPUTE_PGM_RSRC2:TGID_Z_EN: 0
; COMPUTE_PGM_RSRC2:TIDIG_COMP_CNT: 0
	.section	.text._ZN9rocsparseL29coomvn_segmented_loops_reduceILj256Ei21rocsparse_complex_numIfES2_EEvT0_NS_24const_host_device_scalarIT2_EEPKS3_PKS5_PT1_b,"axG",@progbits,_ZN9rocsparseL29coomvn_segmented_loops_reduceILj256Ei21rocsparse_complex_numIfES2_EEvT0_NS_24const_host_device_scalarIT2_EEPKS3_PKS5_PT1_b,comdat
	.globl	_ZN9rocsparseL29coomvn_segmented_loops_reduceILj256Ei21rocsparse_complex_numIfES2_EEvT0_NS_24const_host_device_scalarIT2_EEPKS3_PKS5_PT1_b ; -- Begin function _ZN9rocsparseL29coomvn_segmented_loops_reduceILj256Ei21rocsparse_complex_numIfES2_EEvT0_NS_24const_host_device_scalarIT2_EEPKS3_PKS5_PT1_b
	.p2align	8
	.type	_ZN9rocsparseL29coomvn_segmented_loops_reduceILj256Ei21rocsparse_complex_numIfES2_EEvT0_NS_24const_host_device_scalarIT2_EEPKS3_PKS5_PT1_b,@function
_ZN9rocsparseL29coomvn_segmented_loops_reduceILj256Ei21rocsparse_complex_numIfES2_EEvT0_NS_24const_host_device_scalarIT2_EEPKS3_PKS5_PT1_b: ; @_ZN9rocsparseL29coomvn_segmented_loops_reduceILj256Ei21rocsparse_complex_numIfES2_EEvT0_NS_24const_host_device_scalarIT2_EEPKS3_PKS5_PT1_b
; %bb.0:
	s_clause 0x1
	s_load_b32 s4, s[0:1], 0x28
	s_load_b64 s[2:3], s[0:1], 0x8
	s_waitcnt lgkmcnt(0)
	s_bitcmp1_b32 s4, 0
	v_mov_b32_e32 v1, s2
	s_cselect_b32 s4, -1, 0
	s_delay_alu instid0(SALU_CYCLE_1)
	s_and_b32 vcc_lo, exec_lo, s4
	s_xor_b32 s4, s4, -1
	s_cbranch_vccnz .LBB19_2
; %bb.1:
	v_dual_mov_b32 v1, s2 :: v_dual_mov_b32 v2, s3
	flat_load_b32 v1, v[1:2]
.LBB19_2:
	v_mov_b32_e32 v2, s3
	s_and_not1_b32 vcc_lo, exec_lo, s4
	s_cbranch_vccnz .LBB19_4
; %bb.3:
	v_dual_mov_b32 v2, s2 :: v_dual_mov_b32 v3, s3
	flat_load_b32 v2, v[2:3] offset:4
.LBB19_4:
	s_waitcnt vmcnt(0) lgkmcnt(0)
	v_cmp_neq_f32_e32 vcc_lo, 0, v1
	v_cmp_neq_f32_e64 s2, 0, v2
	s_delay_alu instid0(VALU_DEP_1) | instskip(NEXT) | instid1(SALU_CYCLE_1)
	s_or_b32 s2, vcc_lo, s2
	s_and_saveexec_b32 s3, s2
	s_cbranch_execz .LBB19_46
; %bb.5:
	s_load_b32 s16, s[0:1], 0x0
	s_waitcnt lgkmcnt(0)
	s_cmp_lt_i32 s16, 1
	s_cbranch_scc1 .LBB19_46
; %bb.6:
	s_clause 0x1
	s_load_b128 s[12:15], s[0:1], 0x10
	s_load_b64 s[10:11], s[0:1], 0x20
	v_dual_mov_b32 v2, 0 :: v_dual_lshlrev_b32 v1, 2, v0
	v_lshlrev_b32_e32 v9, 3, v0
	v_cmp_ne_u32_e32 vcc_lo, 0, v0
	v_cmp_lt_u32_e64 s0, 1, v0
	s_delay_alu instid0(VALU_DEP_4)
	v_or_b32_e32 v10, 0x800, v1
	v_add_nc_u32_e32 v11, 0x7fc, v1
	v_add_nc_u32_e32 v12, -8, v9
	v_add_nc_u32_e32 v13, 0x7f8, v1
	v_add_nc_u32_e32 v14, -16, v9
	v_cmp_lt_u32_e64 s1, 3, v0
	v_add_nc_u32_e32 v15, 0x7f0, v1
	v_subrev_nc_u32_e32 v16, 32, v9
	v_cmp_lt_u32_e64 s2, 7, v0
	v_add_nc_u32_e32 v17, 0x7e0, v1
	v_subrev_nc_u32_e32 v18, 64, v9
	v_cmp_lt_u32_e64 s3, 15, v0
	v_add_nc_u32_e32 v19, 0x7c0, v1
	v_add_nc_u32_e32 v20, 0xffffff80, v9
	v_cmp_lt_u32_e64 s4, 31, v0
	v_add_nc_u32_e32 v21, 0x780, v1
	v_add_nc_u32_e32 v22, 0xffffff00, v9
	;; [unrolled: 3-line block ×4, first 2 shown]
	v_cmp_gt_u32_e64 s7, 0xff, v0
	s_mov_b32 s17, 0
	s_branch .LBB19_8
.LBB19_7:                               ;   in Loop: Header=BB19_8 Depth=1
	s_or_b32 exec_lo, exec_lo, s9
	s_addk_i32 s17, 0x100
	s_waitcnt_vscnt null, 0x0
	s_cmp_lt_i32 s17, s16
	s_barrier
	buffer_gl0_inv
	s_cbranch_scc0 .LBB19_46
.LBB19_8:                               ; =>This Inner Loop Header: Depth=1
	v_dual_mov_b32 v8, 0 :: v_dual_add_nc_u32 v3, s17, v0
	v_mov_b32_e32 v1, -1
	v_mov_b32_e32 v7, 0
	s_mov_b32 s9, exec_lo
	s_delay_alu instid0(VALU_DEP_3)
	v_cmpx_gt_i32_e64 s16, v3
	s_cbranch_execz .LBB19_10
; %bb.9:                                ;   in Loop: Header=BB19_8 Depth=1
	v_ashrrev_i32_e32 v4, 31, v3
	s_delay_alu instid0(VALU_DEP_1) | instskip(SKIP_2) | instid1(VALU_DEP_2)
	v_lshlrev_b64 v[5:6], 2, v[3:4]
	v_lshlrev_b64 v[3:4], 3, v[3:4]
	s_waitcnt lgkmcnt(0)
	v_add_co_u32 v5, s8, s12, v5
	s_delay_alu instid0(VALU_DEP_1) | instskip(NEXT) | instid1(VALU_DEP_3)
	v_add_co_ci_u32_e64 v6, s8, s13, v6, s8
	v_add_co_u32 v3, s8, s14, v3
	s_delay_alu instid0(VALU_DEP_1)
	v_add_co_ci_u32_e64 v4, s8, s15, v4, s8
	global_load_b32 v1, v[5:6], off
	global_load_b64 v[7:8], v[3:4], off
.LBB19_10:                              ;   in Loop: Header=BB19_8 Depth=1
	s_or_b32 exec_lo, exec_lo, s9
	v_dual_mov_b32 v4, 0 :: v_dual_mov_b32 v5, 0
	v_mov_b32_e32 v6, 0
	s_waitcnt vmcnt(1)
	ds_store_b32 v10, v1
	s_waitcnt vmcnt(0)
	ds_store_b64 v9, v[7:8]
	s_waitcnt lgkmcnt(0)
	s_barrier
	buffer_gl0_inv
	s_and_saveexec_b32 s9, vcc_lo
	s_cbranch_execz .LBB19_14
; %bb.11:                               ;   in Loop: Header=BB19_8 Depth=1
	ds_load_2addr_b32 v[6:7], v11 offset1:1
	v_mov_b32_e32 v5, 0
	s_waitcnt lgkmcnt(0)
	v_cmp_eq_u32_e64 s8, v7, v6
	v_mov_b32_e32 v6, 0
	s_delay_alu instid0(VALU_DEP_2)
	s_and_saveexec_b32 s18, s8
	s_cbranch_execz .LBB19_13
; %bb.12:                               ;   in Loop: Header=BB19_8 Depth=1
	ds_load_b64 v[5:6], v12
.LBB19_13:                              ;   in Loop: Header=BB19_8 Depth=1
	s_or_b32 exec_lo, exec_lo, s18
.LBB19_14:                              ;   in Loop: Header=BB19_8 Depth=1
	s_delay_alu instid0(SALU_CYCLE_1)
	s_or_b32 exec_lo, exec_lo, s9
	s_waitcnt lgkmcnt(0)
	s_barrier
	buffer_gl0_inv
	ds_load_b64 v[7:8], v9
	v_mov_b32_e32 v3, 0
	s_waitcnt lgkmcnt(0)
	v_dual_add_f32 v5, v5, v7 :: v_dual_add_f32 v6, v6, v8
	ds_store_b64 v9, v[5:6]
	s_waitcnt lgkmcnt(0)
	s_barrier
	buffer_gl0_inv
	s_and_saveexec_b32 s9, s0
	s_cbranch_execz .LBB19_18
; %bb.15:                               ;   in Loop: Header=BB19_8 Depth=1
	ds_load_b32 v1, v10
	ds_load_b32 v4, v13
	v_mov_b32_e32 v3, 0
	s_waitcnt lgkmcnt(0)
	v_cmp_eq_u32_e64 s8, v1, v4
	v_mov_b32_e32 v4, 0
	s_delay_alu instid0(VALU_DEP_2)
	s_and_saveexec_b32 s18, s8
	s_cbranch_execz .LBB19_17
; %bb.16:                               ;   in Loop: Header=BB19_8 Depth=1
	ds_load_b64 v[3:4], v14
.LBB19_17:                              ;   in Loop: Header=BB19_8 Depth=1
	s_or_b32 exec_lo, exec_lo, s18
.LBB19_18:                              ;   in Loop: Header=BB19_8 Depth=1
	s_delay_alu instid0(SALU_CYCLE_1)
	s_or_b32 exec_lo, exec_lo, s9
	s_waitcnt lgkmcnt(0)
	s_barrier
	buffer_gl0_inv
	ds_load_b64 v[5:6], v9
	s_waitcnt lgkmcnt(0)
	v_dual_add_f32 v7, v3, v5 :: v_dual_add_f32 v8, v4, v6
	v_dual_mov_b32 v4, 0 :: v_dual_mov_b32 v5, 0
	v_mov_b32_e32 v6, 0
	ds_store_b64 v9, v[7:8]
	s_waitcnt lgkmcnt(0)
	s_barrier
	buffer_gl0_inv
	s_and_saveexec_b32 s9, s1
	s_cbranch_execz .LBB19_22
; %bb.19:                               ;   in Loop: Header=BB19_8 Depth=1
	ds_load_b32 v1, v10
	ds_load_b32 v3, v15
	v_dual_mov_b32 v5, 0 :: v_dual_mov_b32 v6, 0
	s_mov_b32 s18, exec_lo
	s_waitcnt lgkmcnt(0)
	v_cmpx_eq_u32_e64 v1, v3
	s_cbranch_execz .LBB19_21
; %bb.20:                               ;   in Loop: Header=BB19_8 Depth=1
	ds_load_b64 v[5:6], v16
.LBB19_21:                              ;   in Loop: Header=BB19_8 Depth=1
	s_or_b32 exec_lo, exec_lo, s18
.LBB19_22:                              ;   in Loop: Header=BB19_8 Depth=1
	s_delay_alu instid0(SALU_CYCLE_1)
	s_or_b32 exec_lo, exec_lo, s9
	s_waitcnt lgkmcnt(0)
	s_barrier
	buffer_gl0_inv
	ds_load_b64 v[7:8], v9
	v_mov_b32_e32 v3, 0
	s_waitcnt lgkmcnt(0)
	v_dual_add_f32 v5, v5, v7 :: v_dual_add_f32 v6, v6, v8
	ds_store_b64 v9, v[5:6]
	s_waitcnt lgkmcnt(0)
	s_barrier
	buffer_gl0_inv
	s_and_saveexec_b32 s9, s2
	s_cbranch_execz .LBB19_26
; %bb.23:                               ;   in Loop: Header=BB19_8 Depth=1
	ds_load_b32 v1, v10
	ds_load_b32 v4, v17
	v_mov_b32_e32 v3, 0
	s_waitcnt lgkmcnt(0)
	v_cmp_eq_u32_e64 s8, v1, v4
	v_mov_b32_e32 v4, 0
	s_delay_alu instid0(VALU_DEP_2)
	s_and_saveexec_b32 s18, s8
	s_cbranch_execz .LBB19_25
; %bb.24:                               ;   in Loop: Header=BB19_8 Depth=1
	ds_load_b64 v[3:4], v18
.LBB19_25:                              ;   in Loop: Header=BB19_8 Depth=1
	s_or_b32 exec_lo, exec_lo, s18
.LBB19_26:                              ;   in Loop: Header=BB19_8 Depth=1
	s_delay_alu instid0(SALU_CYCLE_1)
	s_or_b32 exec_lo, exec_lo, s9
	s_waitcnt lgkmcnt(0)
	s_barrier
	buffer_gl0_inv
	ds_load_b64 v[5:6], v9
	s_waitcnt lgkmcnt(0)
	v_dual_add_f32 v7, v3, v5 :: v_dual_add_f32 v8, v4, v6
	v_dual_mov_b32 v4, 0 :: v_dual_mov_b32 v5, 0
	v_mov_b32_e32 v6, 0
	ds_store_b64 v9, v[7:8]
	s_waitcnt lgkmcnt(0)
	s_barrier
	buffer_gl0_inv
	s_and_saveexec_b32 s9, s3
	s_cbranch_execz .LBB19_30
; %bb.27:                               ;   in Loop: Header=BB19_8 Depth=1
	ds_load_b32 v1, v10
	ds_load_b32 v3, v19
	v_dual_mov_b32 v5, 0 :: v_dual_mov_b32 v6, 0
	s_mov_b32 s18, exec_lo
	s_waitcnt lgkmcnt(0)
	v_cmpx_eq_u32_e64 v1, v3
	s_cbranch_execz .LBB19_29
; %bb.28:                               ;   in Loop: Header=BB19_8 Depth=1
	ds_load_b64 v[5:6], v20
.LBB19_29:                              ;   in Loop: Header=BB19_8 Depth=1
	s_or_b32 exec_lo, exec_lo, s18
.LBB19_30:                              ;   in Loop: Header=BB19_8 Depth=1
	;; [unrolled: 59-line block ×3, first 2 shown]
	s_delay_alu instid0(SALU_CYCLE_1)
	s_or_b32 exec_lo, exec_lo, s9
	s_waitcnt lgkmcnt(0)
	s_barrier
	buffer_gl0_inv
	ds_load_b64 v[7:8], v9
	v_mov_b32_e32 v3, 0
	s_waitcnt lgkmcnt(0)
	v_dual_add_f32 v5, v5, v7 :: v_dual_add_f32 v6, v6, v8
	ds_store_b64 v9, v[5:6]
	s_waitcnt lgkmcnt(0)
	s_barrier
	buffer_gl0_inv
	s_and_saveexec_b32 s9, s6
	s_cbranch_execz .LBB19_42
; %bb.39:                               ;   in Loop: Header=BB19_8 Depth=1
	ds_load_b32 v1, v10
	ds_load_b32 v4, v25
	v_mov_b32_e32 v3, 0
	s_waitcnt lgkmcnt(0)
	v_cmp_eq_u32_e64 s8, v1, v4
	v_mov_b32_e32 v4, 0
	s_delay_alu instid0(VALU_DEP_2)
	s_and_saveexec_b32 s18, s8
	s_cbranch_execz .LBB19_41
; %bb.40:                               ;   in Loop: Header=BB19_8 Depth=1
	ds_load_b64 v[3:4], v26
.LBB19_41:                              ;   in Loop: Header=BB19_8 Depth=1
	s_or_b32 exec_lo, exec_lo, s18
.LBB19_42:                              ;   in Loop: Header=BB19_8 Depth=1
	s_delay_alu instid0(SALU_CYCLE_1)
	s_or_b32 exec_lo, exec_lo, s9
	s_waitcnt lgkmcnt(0)
	s_barrier
	buffer_gl0_inv
	ds_load_b64 v[5:6], v9
	s_waitcnt lgkmcnt(0)
	v_dual_add_f32 v3, v3, v5 :: v_dual_add_f32 v4, v4, v6
	ds_store_b64 v9, v[3:4]
	s_waitcnt lgkmcnt(0)
	s_barrier
	buffer_gl0_inv
	ds_load_b32 v1, v10
	v_mov_b32_e32 v3, -1
	s_and_saveexec_b32 s8, s7
	s_cbranch_execz .LBB19_44
; %bb.43:                               ;   in Loop: Header=BB19_8 Depth=1
	ds_load_b32 v3, v10 offset:4
.LBB19_44:                              ;   in Loop: Header=BB19_8 Depth=1
	s_or_b32 exec_lo, exec_lo, s8
	s_waitcnt lgkmcnt(0)
	v_cmp_ne_u32_e64 s8, v1, v3
	v_cmp_lt_i32_e64 s9, -1, v1
	s_delay_alu instid0(VALU_DEP_1) | instskip(NEXT) | instid1(SALU_CYCLE_1)
	s_and_b32 s8, s9, s8
	s_and_saveexec_b32 s9, s8
	s_cbranch_execz .LBB19_7
; %bb.45:                               ;   in Loop: Header=BB19_8 Depth=1
	v_lshlrev_b64 v[3:4], 3, v[1:2]
	ds_load_b64 v[7:8], v9
	v_add_co_u32 v3, s8, s10, v3
	s_delay_alu instid0(VALU_DEP_1)
	v_add_co_ci_u32_e64 v4, s8, s11, v4, s8
	global_load_b64 v[5:6], v[3:4], off
	s_waitcnt vmcnt(0) lgkmcnt(0)
	v_dual_add_f32 v5, v7, v5 :: v_dual_add_f32 v6, v8, v6
	global_store_b64 v[3:4], v[5:6], off
	s_branch .LBB19_7
.LBB19_46:
	s_endpgm
	.section	.rodata,"a",@progbits
	.p2align	6, 0x0
	.amdhsa_kernel _ZN9rocsparseL29coomvn_segmented_loops_reduceILj256Ei21rocsparse_complex_numIfES2_EEvT0_NS_24const_host_device_scalarIT2_EEPKS3_PKS5_PT1_b
		.amdhsa_group_segment_fixed_size 3072
		.amdhsa_private_segment_fixed_size 0
		.amdhsa_kernarg_size 44
		.amdhsa_user_sgpr_count 15
		.amdhsa_user_sgpr_dispatch_ptr 0
		.amdhsa_user_sgpr_queue_ptr 0
		.amdhsa_user_sgpr_kernarg_segment_ptr 1
		.amdhsa_user_sgpr_dispatch_id 0
		.amdhsa_user_sgpr_private_segment_size 0
		.amdhsa_wavefront_size32 1
		.amdhsa_uses_dynamic_stack 0
		.amdhsa_enable_private_segment 0
		.amdhsa_system_sgpr_workgroup_id_x 1
		.amdhsa_system_sgpr_workgroup_id_y 0
		.amdhsa_system_sgpr_workgroup_id_z 0
		.amdhsa_system_sgpr_workgroup_info 0
		.amdhsa_system_vgpr_workitem_id 0
		.amdhsa_next_free_vgpr 27
		.amdhsa_next_free_sgpr 19
		.amdhsa_reserve_vcc 1
		.amdhsa_float_round_mode_32 0
		.amdhsa_float_round_mode_16_64 0
		.amdhsa_float_denorm_mode_32 3
		.amdhsa_float_denorm_mode_16_64 3
		.amdhsa_dx10_clamp 1
		.amdhsa_ieee_mode 1
		.amdhsa_fp16_overflow 0
		.amdhsa_workgroup_processor_mode 1
		.amdhsa_memory_ordered 1
		.amdhsa_forward_progress 0
		.amdhsa_shared_vgpr_count 0
		.amdhsa_exception_fp_ieee_invalid_op 0
		.amdhsa_exception_fp_denorm_src 0
		.amdhsa_exception_fp_ieee_div_zero 0
		.amdhsa_exception_fp_ieee_overflow 0
		.amdhsa_exception_fp_ieee_underflow 0
		.amdhsa_exception_fp_ieee_inexact 0
		.amdhsa_exception_int_div_zero 0
	.end_amdhsa_kernel
	.section	.text._ZN9rocsparseL29coomvn_segmented_loops_reduceILj256Ei21rocsparse_complex_numIfES2_EEvT0_NS_24const_host_device_scalarIT2_EEPKS3_PKS5_PT1_b,"axG",@progbits,_ZN9rocsparseL29coomvn_segmented_loops_reduceILj256Ei21rocsparse_complex_numIfES2_EEvT0_NS_24const_host_device_scalarIT2_EEPKS3_PKS5_PT1_b,comdat
.Lfunc_end19:
	.size	_ZN9rocsparseL29coomvn_segmented_loops_reduceILj256Ei21rocsparse_complex_numIfES2_EEvT0_NS_24const_host_device_scalarIT2_EEPKS3_PKS5_PT1_b, .Lfunc_end19-_ZN9rocsparseL29coomvn_segmented_loops_reduceILj256Ei21rocsparse_complex_numIfES2_EEvT0_NS_24const_host_device_scalarIT2_EEPKS3_PKS5_PT1_b
                                        ; -- End function
	.section	.AMDGPU.csdata,"",@progbits
; Kernel info:
; codeLenInByte = 1856
; NumSgprs: 21
; NumVgprs: 27
; ScratchSize: 0
; MemoryBound: 0
; FloatMode: 240
; IeeeMode: 1
; LDSByteSize: 3072 bytes/workgroup (compile time only)
; SGPRBlocks: 2
; VGPRBlocks: 3
; NumSGPRsForWavesPerEU: 21
; NumVGPRsForWavesPerEU: 27
; Occupancy: 16
; WaveLimiterHint : 0
; COMPUTE_PGM_RSRC2:SCRATCH_EN: 0
; COMPUTE_PGM_RSRC2:USER_SGPR: 15
; COMPUTE_PGM_RSRC2:TRAP_HANDLER: 0
; COMPUTE_PGM_RSRC2:TGID_X_EN: 1
; COMPUTE_PGM_RSRC2:TGID_Y_EN: 0
; COMPUTE_PGM_RSRC2:TGID_Z_EN: 0
; COMPUTE_PGM_RSRC2:TIDIG_COMP_CNT: 0
	.section	.text._ZN9rocsparseL23coomvn_aos_atomic_loopsILj256ELj1El21rocsparse_complex_numIfES2_S2_S2_EEvlNS_24const_host_device_scalarIT5_EEPKT1_PKT2_PKT3_PT4_21rocsparse_index_base_b,"axG",@progbits,_ZN9rocsparseL23coomvn_aos_atomic_loopsILj256ELj1El21rocsparse_complex_numIfES2_S2_S2_EEvlNS_24const_host_device_scalarIT5_EEPKT1_PKT2_PKT3_PT4_21rocsparse_index_base_b,comdat
	.globl	_ZN9rocsparseL23coomvn_aos_atomic_loopsILj256ELj1El21rocsparse_complex_numIfES2_S2_S2_EEvlNS_24const_host_device_scalarIT5_EEPKT1_PKT2_PKT3_PT4_21rocsparse_index_base_b ; -- Begin function _ZN9rocsparseL23coomvn_aos_atomic_loopsILj256ELj1El21rocsparse_complex_numIfES2_S2_S2_EEvlNS_24const_host_device_scalarIT5_EEPKT1_PKT2_PKT3_PT4_21rocsparse_index_base_b
	.p2align	8
	.type	_ZN9rocsparseL23coomvn_aos_atomic_loopsILj256ELj1El21rocsparse_complex_numIfES2_S2_S2_EEvlNS_24const_host_device_scalarIT5_EEPKT1_PKT2_PKT3_PT4_21rocsparse_index_base_b,@function
_ZN9rocsparseL23coomvn_aos_atomic_loopsILj256ELj1El21rocsparse_complex_numIfES2_S2_S2_EEvlNS_24const_host_device_scalarIT5_EEPKT1_PKT2_PKT3_PT4_21rocsparse_index_base_b: ; @_ZN9rocsparseL23coomvn_aos_atomic_loopsILj256ELj1El21rocsparse_complex_numIfES2_S2_S2_EEvlNS_24const_host_device_scalarIT5_EEPKT1_PKT2_PKT3_PT4_21rocsparse_index_base_b
; %bb.0:
	s_clause 0x2
	s_load_b64 s[8:9], s[0:1], 0x30
	s_load_b64 s[2:3], s[0:1], 0x8
	s_load_b128 s[4:7], s[0:1], 0x0
	s_waitcnt lgkmcnt(0)
	s_bitcmp1_b32 s9, 0
	v_mov_b32_e32 v9, s2
	s_cselect_b32 s9, -1, 0
	s_delay_alu instid0(SALU_CYCLE_1)
	s_and_b32 vcc_lo, exec_lo, s9
	s_xor_b32 s2, s9, -1
	s_cbranch_vccnz .LBB20_2
; %bb.1:
	v_dual_mov_b32 v1, s6 :: v_dual_mov_b32 v2, s7
	flat_load_b32 v9, v[1:2]
.LBB20_2:
	v_mov_b32_e32 v10, s3
	s_and_not1_b32 vcc_lo, exec_lo, s2
	s_cbranch_vccnz .LBB20_4
; %bb.3:
	v_dual_mov_b32 v1, s6 :: v_dual_mov_b32 v2, s7
	flat_load_b32 v10, v[1:2] offset:4
.LBB20_4:
	s_waitcnt vmcnt(0) lgkmcnt(0)
	v_cmp_neq_f32_e32 vcc_lo, 0, v9
	v_cmp_neq_f32_e64 s2, 0, v10
	s_delay_alu instid0(VALU_DEP_1) | instskip(NEXT) | instid1(SALU_CYCLE_1)
	s_or_b32 s2, vcc_lo, s2
	s_and_saveexec_b32 s3, s2
	s_cbranch_execz .LBB20_50
; %bb.5:
	v_dual_mov_b32 v6, 0 :: v_dual_mov_b32 v3, -1
	v_lshl_or_b32 v5, s15, 8, v0
	v_mov_b32_e32 v4, -1
	s_mov_b32 s2, exec_lo
	s_delay_alu instid0(VALU_DEP_3)
	v_mov_b32_e32 v1, v6
	v_mov_b32_e32 v2, v6
	v_cmpx_gt_i64_e64 s[4:5], v[5:6]
	s_cbranch_execz .LBB20_7
; %bb.6:
	s_clause 0x1
	s_load_b128 s[4:7], s[0:1], 0x10
	s_load_b64 s[10:11], s[0:1], 0x20
	v_lshlrev_b64 v[1:2], 4, v[5:6]
	v_lshlrev_b64 v[3:4], 3, v[5:6]
	s_waitcnt lgkmcnt(0)
	s_delay_alu instid0(VALU_DEP_2) | instskip(NEXT) | instid1(VALU_DEP_3)
	v_add_co_u32 v1, vcc_lo, s4, v1
	v_add_co_ci_u32_e32 v2, vcc_lo, s5, v2, vcc_lo
	global_load_b128 v[11:14], v[1:2], off slc dlc
	s_waitcnt vmcnt(0)
	v_sub_co_u32 v1, vcc_lo, v13, s8
	v_subrev_co_ci_u32_e32 v2, vcc_lo, 0, v14, vcc_lo
	v_add_co_u32 v3, vcc_lo, s6, v3
	v_add_co_ci_u32_e32 v4, vcc_lo, s7, v4, vcc_lo
	s_delay_alu instid0(VALU_DEP_3) | instskip(NEXT) | instid1(VALU_DEP_1)
	v_lshlrev_b64 v[1:2], 3, v[1:2]
	v_add_co_u32 v1, vcc_lo, s10, v1
	s_delay_alu instid0(VALU_DEP_2)
	v_add_co_ci_u32_e32 v2, vcc_lo, s11, v2, vcc_lo
	global_load_b64 v[5:6], v[3:4], off slc dlc
	global_load_b64 v[7:8], v[1:2], off
	v_sub_co_u32 v3, vcc_lo, v11, s8
	v_subrev_co_ci_u32_e32 v4, vcc_lo, 0, v12, vcc_lo
	s_waitcnt vmcnt(0)
	v_mul_f32_e64 v1, v8, -v6
	v_mul_f32_e32 v2, v5, v8
	s_delay_alu instid0(VALU_DEP_2) | instskip(NEXT) | instid1(VALU_DEP_2)
	v_fmac_f32_e32 v1, v5, v7
	v_fmac_f32_e32 v2, v6, v7
.LBB20_7:
	s_or_b32 exec_lo, exec_lo, s2
	v_lshlrev_b32_e32 v5, 3, v0
	s_mov_b32 s2, exec_lo
	s_delay_alu instid0(VALU_DEP_1)
	v_or_b32_e32 v6, 0x800, v5
	ds_store_2addr_stride64_b64 v5, v[3:4], v[1:2] offset1:4
	s_waitcnt lgkmcnt(0)
	s_barrier
	buffer_gl0_inv
	v_cmpx_ne_u32_e32 0, v0
	s_cbranch_execz .LBB20_11
; %bb.8:
	v_add_nc_u32_e32 v7, -8, v5
	s_mov_b32 s3, exec_lo
	ds_load_b64 v[7:8], v7
	s_waitcnt lgkmcnt(0)
	v_cmpx_eq_u64_e64 v[3:4], v[7:8]
	s_cbranch_execz .LBB20_10
; %bb.9:
	v_add_nc_u32_e32 v7, -8, v6
	ds_load_b64 v[7:8], v7
	s_waitcnt lgkmcnt(0)
	v_dual_add_f32 v2, v2, v8 :: v_dual_add_f32 v1, v1, v7
.LBB20_10:
	s_or_b32 exec_lo, exec_lo, s3
.LBB20_11:
	s_delay_alu instid0(SALU_CYCLE_1) | instskip(NEXT) | instid1(SALU_CYCLE_1)
	s_or_b32 exec_lo, exec_lo, s2
	s_mov_b32 s2, exec_lo
	s_barrier
	buffer_gl0_inv
	ds_store_b64 v6, v[1:2]
	s_waitcnt lgkmcnt(0)
	s_barrier
	buffer_gl0_inv
	v_cmpx_lt_u32_e32 1, v0
	s_cbranch_execz .LBB20_15
; %bb.12:
	v_add_nc_u32_e32 v7, -16, v5
	s_mov_b32 s3, exec_lo
	ds_load_b64 v[7:8], v7
	s_waitcnt lgkmcnt(0)
	v_cmpx_eq_u64_e64 v[3:4], v[7:8]
	s_cbranch_execz .LBB20_14
; %bb.13:
	v_add_nc_u32_e32 v7, -16, v6
	ds_load_b64 v[7:8], v7
	s_waitcnt lgkmcnt(0)
	v_dual_add_f32 v2, v2, v8 :: v_dual_add_f32 v1, v1, v7
.LBB20_14:
	s_or_b32 exec_lo, exec_lo, s3
.LBB20_15:
	s_delay_alu instid0(SALU_CYCLE_1) | instskip(NEXT) | instid1(SALU_CYCLE_1)
	s_or_b32 exec_lo, exec_lo, s2
	s_mov_b32 s2, exec_lo
	s_barrier
	buffer_gl0_inv
	ds_store_b64 v6, v[1:2]
	s_waitcnt lgkmcnt(0)
	s_barrier
	buffer_gl0_inv
	v_cmpx_lt_u32_e32 3, v0
	s_cbranch_execz .LBB20_19
; %bb.16:
	v_subrev_nc_u32_e32 v7, 32, v5
	s_mov_b32 s3, exec_lo
	ds_load_b64 v[7:8], v7
	s_waitcnt lgkmcnt(0)
	v_cmpx_eq_u64_e64 v[3:4], v[7:8]
	s_cbranch_execz .LBB20_18
; %bb.17:
	v_subrev_nc_u32_e32 v7, 32, v6
	ds_load_b64 v[7:8], v7
	s_waitcnt lgkmcnt(0)
	v_dual_add_f32 v1, v1, v7 :: v_dual_add_f32 v2, v2, v8
.LBB20_18:
	s_or_b32 exec_lo, exec_lo, s3
.LBB20_19:
	s_delay_alu instid0(SALU_CYCLE_1) | instskip(NEXT) | instid1(SALU_CYCLE_1)
	s_or_b32 exec_lo, exec_lo, s2
	s_mov_b32 s2, exec_lo
	s_barrier
	buffer_gl0_inv
	ds_store_b64 v6, v[1:2]
	s_waitcnt lgkmcnt(0)
	s_barrier
	buffer_gl0_inv
	v_cmpx_lt_u32_e32 7, v0
	s_cbranch_execz .LBB20_23
; %bb.20:
	v_subrev_nc_u32_e32 v7, 64, v5
	s_mov_b32 s3, exec_lo
	ds_load_b64 v[7:8], v7
	s_waitcnt lgkmcnt(0)
	v_cmpx_eq_u64_e64 v[3:4], v[7:8]
	s_cbranch_execz .LBB20_22
; %bb.21:
	v_subrev_nc_u32_e32 v7, 64, v6
	ds_load_b64 v[7:8], v7
	s_waitcnt lgkmcnt(0)
	v_dual_add_f32 v1, v1, v7 :: v_dual_add_f32 v2, v2, v8
.LBB20_22:
	s_or_b32 exec_lo, exec_lo, s3
.LBB20_23:
	s_delay_alu instid0(SALU_CYCLE_1) | instskip(NEXT) | instid1(SALU_CYCLE_1)
	s_or_b32 exec_lo, exec_lo, s2
	s_mov_b32 s2, exec_lo
	s_barrier
	buffer_gl0_inv
	ds_store_b64 v6, v[1:2]
	s_waitcnt lgkmcnt(0)
	s_barrier
	buffer_gl0_inv
	v_cmpx_lt_u32_e32 15, v0
	s_cbranch_execz .LBB20_27
; %bb.24:
	v_add_nc_u32_e32 v7, 0xffffff80, v5
	s_mov_b32 s3, exec_lo
	ds_load_b64 v[7:8], v7
	s_waitcnt lgkmcnt(0)
	v_cmpx_eq_u64_e64 v[3:4], v[7:8]
	s_cbranch_execz .LBB20_26
; %bb.25:
	v_add_nc_u32_e32 v7, 0xffffff80, v6
	ds_load_b64 v[7:8], v7
	s_waitcnt lgkmcnt(0)
	v_dual_add_f32 v2, v2, v8 :: v_dual_add_f32 v1, v1, v7
.LBB20_26:
	s_or_b32 exec_lo, exec_lo, s3
.LBB20_27:
	s_delay_alu instid0(SALU_CYCLE_1) | instskip(NEXT) | instid1(SALU_CYCLE_1)
	s_or_b32 exec_lo, exec_lo, s2
	s_mov_b32 s2, exec_lo
	s_barrier
	buffer_gl0_inv
	ds_store_b64 v6, v[1:2]
	s_waitcnt lgkmcnt(0)
	s_barrier
	buffer_gl0_inv
	v_cmpx_lt_u32_e32 31, v0
	s_cbranch_execz .LBB20_31
; %bb.28:
	v_add_nc_u32_e32 v7, 0xffffff00, v5
	s_mov_b32 s3, exec_lo
	ds_load_b64 v[7:8], v7
	s_waitcnt lgkmcnt(0)
	v_cmpx_eq_u64_e64 v[3:4], v[7:8]
	s_cbranch_execz .LBB20_30
; %bb.29:
	v_add_nc_u32_e32 v7, 0xffffff00, v6
	ds_load_b64 v[7:8], v7
	s_waitcnt lgkmcnt(0)
	v_dual_add_f32 v2, v2, v8 :: v_dual_add_f32 v1, v1, v7
.LBB20_30:
	s_or_b32 exec_lo, exec_lo, s3
.LBB20_31:
	;; [unrolled: 26-line block ×3, first 2 shown]
	s_delay_alu instid0(SALU_CYCLE_1)
	s_or_b32 exec_lo, exec_lo, s2
	s_load_b64 s[2:3], s[0:1], 0x28
	s_mov_b32 s0, exec_lo
	s_waitcnt lgkmcnt(0)
	s_barrier
	buffer_gl0_inv
	ds_store_b64 v6, v[1:2]
	s_waitcnt lgkmcnt(0)
	s_barrier
	buffer_gl0_inv
	v_cmpx_lt_u32_e32 0x7f, v0
	s_cbranch_execz .LBB20_39
; %bb.36:
	v_add_nc_u32_e32 v7, 0xfffffc00, v5
	s_mov_b32 s1, exec_lo
	ds_load_b64 v[7:8], v7
	s_waitcnt lgkmcnt(0)
	v_cmpx_eq_u64_e64 v[3:4], v[7:8]
	s_cbranch_execz .LBB20_38
; %bb.37:
	v_add_nc_u32_e32 v7, 0xfffffc00, v6
	ds_load_b64 v[7:8], v7
	s_waitcnt lgkmcnt(0)
	v_dual_add_f32 v2, v2, v8 :: v_dual_add_f32 v1, v1, v7
.LBB20_38:
	s_or_b32 exec_lo, exec_lo, s1
.LBB20_39:
	s_delay_alu instid0(SALU_CYCLE_1) | instskip(NEXT) | instid1(SALU_CYCLE_1)
	s_or_b32 exec_lo, exec_lo, s0
	s_mov_b32 s1, exec_lo
	s_barrier
	buffer_gl0_inv
	ds_store_b64 v6, v[1:2]
	s_waitcnt lgkmcnt(0)
	s_barrier
	buffer_gl0_inv
	v_cmpx_gt_u32_e32 0xff, v0
	s_cbranch_execz .LBB20_45
; %bb.40:
	ds_load_b64 v[5:6], v5 offset:8
	v_cmp_lt_i64_e64 s0, -1, v[3:4]
	s_waitcnt lgkmcnt(0)
	v_cmp_ne_u64_e32 vcc_lo, v[3:4], v[5:6]
	s_delay_alu instid0(VALU_DEP_2) | instskip(NEXT) | instid1(SALU_CYCLE_1)
	s_and_b32 s0, s0, vcc_lo
	s_and_b32 exec_lo, exec_lo, s0
	s_cbranch_execz .LBB20_45
; %bb.41:
	v_lshlrev_b64 v[5:6], 3, v[3:4]
	v_mul_f32_e64 v11, v2, -v10
	s_mov_b32 s0, 0
	s_delay_alu instid0(VALU_DEP_1) | instskip(NEXT) | instid1(VALU_DEP_3)
	v_fmac_f32_e32 v11, v9, v1
	v_add_co_u32 v5, vcc_lo, s2, v5
	s_delay_alu instid0(VALU_DEP_4)
	v_add_co_ci_u32_e32 v6, vcc_lo, s3, v6, vcc_lo
	global_load_b32 v8, v[5:6], off
.LBB20_42:                              ; =>This Inner Loop Header: Depth=1
	s_waitcnt vmcnt(0)
	v_add_f32_e32 v7, v8, v11
	global_atomic_cmpswap_b32 v7, v[5:6], v[7:8], off glc
	s_waitcnt vmcnt(0)
	v_cmp_eq_u32_e32 vcc_lo, v7, v8
	v_mov_b32_e32 v8, v7
	s_or_b32 s0, vcc_lo, s0
	s_delay_alu instid0(SALU_CYCLE_1)
	s_and_not1_b32 exec_lo, exec_lo, s0
	s_cbranch_execnz .LBB20_42
; %bb.43:
	s_or_b32 exec_lo, exec_lo, s0
	global_load_b32 v8, v[5:6], off offset:4
	v_mul_f32_e32 v11, v9, v2
	s_mov_b32 s0, 0
	s_delay_alu instid0(VALU_DEP_1)
	v_fmac_f32_e32 v11, v10, v1
.LBB20_44:                              ; =>This Inner Loop Header: Depth=1
	s_waitcnt vmcnt(0)
	s_delay_alu instid0(VALU_DEP_1)
	v_add_f32_e32 v7, v8, v11
	global_atomic_cmpswap_b32 v7, v[5:6], v[7:8], off offset:4 glc
	s_waitcnt vmcnt(0)
	v_cmp_eq_u32_e32 vcc_lo, v7, v8
	v_mov_b32_e32 v8, v7
	s_or_b32 s0, vcc_lo, s0
	s_delay_alu instid0(SALU_CYCLE_1)
	s_and_not1_b32 exec_lo, exec_lo, s0
	s_cbranch_execnz .LBB20_44
.LBB20_45:
	s_or_b32 exec_lo, exec_lo, s1
	v_cmp_lt_i64_e32 vcc_lo, -1, v[3:4]
	v_cmp_eq_u32_e64 s0, 0xff, v0
	s_delay_alu instid0(VALU_DEP_1) | instskip(NEXT) | instid1(SALU_CYCLE_1)
	s_and_b32 s0, s0, vcc_lo
	s_and_b32 exec_lo, exec_lo, s0
	s_cbranch_execz .LBB20_50
; %bb.46:
	v_lshlrev_b64 v[3:4], 3, v[3:4]
	v_mul_f32_e64 v0, v2, -v10
	s_mov_b32 s0, 0
	s_delay_alu instid0(VALU_DEP_1) | instskip(NEXT) | instid1(VALU_DEP_3)
	v_fmac_f32_e32 v0, v9, v1
	v_add_co_u32 v3, vcc_lo, s2, v3
	s_delay_alu instid0(VALU_DEP_4)
	v_add_co_ci_u32_e32 v4, vcc_lo, s3, v4, vcc_lo
	global_load_b32 v6, v[3:4], off
.LBB20_47:                              ; =>This Inner Loop Header: Depth=1
	s_waitcnt vmcnt(0)
	v_add_f32_e32 v5, v6, v0
	global_atomic_cmpswap_b32 v5, v[3:4], v[5:6], off glc
	s_waitcnt vmcnt(0)
	v_cmp_eq_u32_e32 vcc_lo, v5, v6
	v_mov_b32_e32 v6, v5
	s_or_b32 s0, vcc_lo, s0
	s_delay_alu instid0(SALU_CYCLE_1)
	s_and_not1_b32 exec_lo, exec_lo, s0
	s_cbranch_execnz .LBB20_47
; %bb.48:
	s_or_b32 exec_lo, exec_lo, s0
	global_load_b32 v6, v[3:4], off offset:4
	v_mul_f32_e32 v0, v9, v2
	s_mov_b32 s0, 0
	s_delay_alu instid0(VALU_DEP_1)
	v_fmac_f32_e32 v0, v10, v1
.LBB20_49:                              ; =>This Inner Loop Header: Depth=1
	s_waitcnt vmcnt(0)
	s_delay_alu instid0(VALU_DEP_1)
	v_add_f32_e32 v5, v6, v0
	global_atomic_cmpswap_b32 v1, v[3:4], v[5:6], off offset:4 glc
	s_waitcnt vmcnt(0)
	v_cmp_eq_u32_e32 vcc_lo, v1, v6
	v_mov_b32_e32 v6, v1
	s_or_b32 s0, vcc_lo, s0
	s_delay_alu instid0(SALU_CYCLE_1)
	s_and_not1_b32 exec_lo, exec_lo, s0
	s_cbranch_execnz .LBB20_49
.LBB20_50:
	s_endpgm
	.section	.rodata,"a",@progbits
	.p2align	6, 0x0
	.amdhsa_kernel _ZN9rocsparseL23coomvn_aos_atomic_loopsILj256ELj1El21rocsparse_complex_numIfES2_S2_S2_EEvlNS_24const_host_device_scalarIT5_EEPKT1_PKT2_PKT3_PT4_21rocsparse_index_base_b
		.amdhsa_group_segment_fixed_size 4096
		.amdhsa_private_segment_fixed_size 0
		.amdhsa_kernarg_size 56
		.amdhsa_user_sgpr_count 15
		.amdhsa_user_sgpr_dispatch_ptr 0
		.amdhsa_user_sgpr_queue_ptr 0
		.amdhsa_user_sgpr_kernarg_segment_ptr 1
		.amdhsa_user_sgpr_dispatch_id 0
		.amdhsa_user_sgpr_private_segment_size 0
		.amdhsa_wavefront_size32 1
		.amdhsa_uses_dynamic_stack 0
		.amdhsa_enable_private_segment 0
		.amdhsa_system_sgpr_workgroup_id_x 1
		.amdhsa_system_sgpr_workgroup_id_y 0
		.amdhsa_system_sgpr_workgroup_id_z 0
		.amdhsa_system_sgpr_workgroup_info 0
		.amdhsa_system_vgpr_workitem_id 0
		.amdhsa_next_free_vgpr 15
		.amdhsa_next_free_sgpr 16
		.amdhsa_reserve_vcc 1
		.amdhsa_float_round_mode_32 0
		.amdhsa_float_round_mode_16_64 0
		.amdhsa_float_denorm_mode_32 3
		.amdhsa_float_denorm_mode_16_64 3
		.amdhsa_dx10_clamp 1
		.amdhsa_ieee_mode 1
		.amdhsa_fp16_overflow 0
		.amdhsa_workgroup_processor_mode 1
		.amdhsa_memory_ordered 1
		.amdhsa_forward_progress 0
		.amdhsa_shared_vgpr_count 0
		.amdhsa_exception_fp_ieee_invalid_op 0
		.amdhsa_exception_fp_denorm_src 0
		.amdhsa_exception_fp_ieee_div_zero 0
		.amdhsa_exception_fp_ieee_overflow 0
		.amdhsa_exception_fp_ieee_underflow 0
		.amdhsa_exception_fp_ieee_inexact 0
		.amdhsa_exception_int_div_zero 0
	.end_amdhsa_kernel
	.section	.text._ZN9rocsparseL23coomvn_aos_atomic_loopsILj256ELj1El21rocsparse_complex_numIfES2_S2_S2_EEvlNS_24const_host_device_scalarIT5_EEPKT1_PKT2_PKT3_PT4_21rocsparse_index_base_b,"axG",@progbits,_ZN9rocsparseL23coomvn_aos_atomic_loopsILj256ELj1El21rocsparse_complex_numIfES2_S2_S2_EEvlNS_24const_host_device_scalarIT5_EEPKT1_PKT2_PKT3_PT4_21rocsparse_index_base_b,comdat
.Lfunc_end20:
	.size	_ZN9rocsparseL23coomvn_aos_atomic_loopsILj256ELj1El21rocsparse_complex_numIfES2_S2_S2_EEvlNS_24const_host_device_scalarIT5_EEPKT1_PKT2_PKT3_PT4_21rocsparse_index_base_b, .Lfunc_end20-_ZN9rocsparseL23coomvn_aos_atomic_loopsILj256ELj1El21rocsparse_complex_numIfES2_S2_S2_EEvlNS_24const_host_device_scalarIT5_EEPKT1_PKT2_PKT3_PT4_21rocsparse_index_base_b
                                        ; -- End function
	.section	.AMDGPU.csdata,"",@progbits
; Kernel info:
; codeLenInByte = 1820
; NumSgprs: 18
; NumVgprs: 15
; ScratchSize: 0
; MemoryBound: 0
; FloatMode: 240
; IeeeMode: 1
; LDSByteSize: 4096 bytes/workgroup (compile time only)
; SGPRBlocks: 2
; VGPRBlocks: 1
; NumSGPRsForWavesPerEU: 18
; NumVGPRsForWavesPerEU: 15
; Occupancy: 16
; WaveLimiterHint : 1
; COMPUTE_PGM_RSRC2:SCRATCH_EN: 0
; COMPUTE_PGM_RSRC2:USER_SGPR: 15
; COMPUTE_PGM_RSRC2:TRAP_HANDLER: 0
; COMPUTE_PGM_RSRC2:TGID_X_EN: 1
; COMPUTE_PGM_RSRC2:TGID_Y_EN: 0
; COMPUTE_PGM_RSRC2:TGID_Z_EN: 0
; COMPUTE_PGM_RSRC2:TIDIG_COMP_CNT: 0
	.section	.text._ZN9rocsparseL17coomvt_aos_kernelILj1024El21rocsparse_complex_numIfES2_S2_S2_EEv20rocsparse_operation_lNS_24const_host_device_scalarIT4_EEPKT0_PKT1_PKT2_PT3_21rocsparse_index_base_b,"axG",@progbits,_ZN9rocsparseL17coomvt_aos_kernelILj1024El21rocsparse_complex_numIfES2_S2_S2_EEv20rocsparse_operation_lNS_24const_host_device_scalarIT4_EEPKT0_PKT1_PKT2_PT3_21rocsparse_index_base_b,comdat
	.globl	_ZN9rocsparseL17coomvt_aos_kernelILj1024El21rocsparse_complex_numIfES2_S2_S2_EEv20rocsparse_operation_lNS_24const_host_device_scalarIT4_EEPKT0_PKT1_PKT2_PT3_21rocsparse_index_base_b ; -- Begin function _ZN9rocsparseL17coomvt_aos_kernelILj1024El21rocsparse_complex_numIfES2_S2_S2_EEv20rocsparse_operation_lNS_24const_host_device_scalarIT4_EEPKT0_PKT1_PKT2_PT3_21rocsparse_index_base_b
	.p2align	8
	.type	_ZN9rocsparseL17coomvt_aos_kernelILj1024El21rocsparse_complex_numIfES2_S2_S2_EEv20rocsparse_operation_lNS_24const_host_device_scalarIT4_EEPKT0_PKT1_PKT2_PT3_21rocsparse_index_base_b,@function
_ZN9rocsparseL17coomvt_aos_kernelILj1024El21rocsparse_complex_numIfES2_S2_S2_EEv20rocsparse_operation_lNS_24const_host_device_scalarIT4_EEPKT0_PKT1_PKT2_PT3_21rocsparse_index_base_b: ; @_ZN9rocsparseL17coomvt_aos_kernelILj1024El21rocsparse_complex_numIfES2_S2_S2_EEv20rocsparse_operation_lNS_24const_host_device_scalarIT4_EEPKT0_PKT1_PKT2_PT3_21rocsparse_index_base_b
; %bb.0:
	s_clause 0x2
	s_load_b64 s[12:13], s[0:1], 0x38
	s_load_b64 s[2:3], s[0:1], 0x10
	s_load_b128 s[4:7], s[0:1], 0x8
	s_waitcnt lgkmcnt(0)
	s_bitcmp1_b32 s13, 0
	v_mov_b32_e32 v4, s2
	s_cselect_b32 s8, -1, 0
	s_delay_alu instid0(SALU_CYCLE_1)
	s_and_b32 vcc_lo, exec_lo, s8
	s_xor_b32 s2, s8, -1
	s_cbranch_vccnz .LBB21_2
; %bb.1:
	v_dual_mov_b32 v1, s6 :: v_dual_mov_b32 v2, s7
	flat_load_b32 v4, v[1:2]
.LBB21_2:
	v_mov_b32_e32 v6, s3
	s_and_not1_b32 vcc_lo, exec_lo, s2
	s_cbranch_vccnz .LBB21_4
; %bb.3:
	v_dual_mov_b32 v1, s6 :: v_dual_mov_b32 v2, s7
	flat_load_b32 v6, v[1:2] offset:4
.LBB21_4:
	s_waitcnt vmcnt(0) lgkmcnt(0)
	v_cmp_neq_f32_e32 vcc_lo, 0, v4
	v_cmp_neq_f32_e64 s2, 0, v6
	s_delay_alu instid0(VALU_DEP_1) | instskip(NEXT) | instid1(SALU_CYCLE_1)
	s_or_b32 s2, vcc_lo, s2
	s_and_saveexec_b32 s3, s2
	s_cbranch_execz .LBB21_10
; %bb.5:
	s_load_b32 s2, s[0:1], 0x4c
	s_waitcnt lgkmcnt(0)
	s_and_b32 s2, s2, 0xffff
	s_delay_alu instid0(SALU_CYCLE_1) | instskip(SKIP_1) | instid1(VALU_DEP_1)
	v_mad_u64_u32 v[1:2], null, s15, s2, v[0:1]
	v_mov_b32_e32 v2, 0
	v_cmp_gt_i64_e32 vcc_lo, s[4:5], v[1:2]
	s_and_b32 exec_lo, exec_lo, vcc_lo
	s_cbranch_execz .LBB21_10
; %bb.6:
	s_load_b256 s[4:11], s[0:1], 0x18
	v_lshlrev_b64 v[7:8], 4, v[1:2]
	v_lshlrev_b64 v[0:1], 3, v[1:2]
	s_load_b32 s0, s[0:1], 0x0
	s_waitcnt lgkmcnt(0)
	s_delay_alu instid0(VALU_DEP_2) | instskip(NEXT) | instid1(VALU_DEP_3)
	v_add_co_u32 v7, vcc_lo, s4, v7
	v_add_co_ci_u32_e32 v8, vcc_lo, s5, v8, vcc_lo
	s_delay_alu instid0(VALU_DEP_3)
	v_add_co_u32 v0, vcc_lo, s6, v0
	v_add_co_ci_u32_e32 v1, vcc_lo, s7, v1, vcc_lo
	global_load_b128 v[7:10], v[7:8], off
	s_cmpk_eq_i32 s0, 0x71
	global_load_b64 v[11:12], v[0:1], off
	s_cselect_b32 s0, -1, 0
	s_waitcnt vmcnt(1)
	v_sub_co_u32 v2, vcc_lo, v7, s12
	v_subrev_co_ci_u32_e32 v3, vcc_lo, 0, v8, vcc_lo
	s_delay_alu instid0(VALU_DEP_1) | instskip(SKIP_2) | instid1(VALU_DEP_3)
	v_lshlrev_b64 v[0:1], 3, v[2:3]
	v_sub_co_u32 v2, vcc_lo, v9, s12
	v_subrev_co_ci_u32_e32 v3, vcc_lo, 0, v10, vcc_lo
	v_add_co_u32 v0, vcc_lo, s8, v0
	s_delay_alu instid0(VALU_DEP_4) | instskip(NEXT) | instid1(VALU_DEP_3)
	v_add_co_ci_u32_e32 v1, vcc_lo, s9, v1, vcc_lo
	v_lshlrev_b64 v[7:8], 3, v[2:3]
	global_load_b64 v[2:3], v[0:1], off
	v_add_co_u32 v0, vcc_lo, s10, v7
	v_add_co_ci_u32_e32 v1, vcc_lo, s11, v8, vcc_lo
	s_waitcnt vmcnt(1)
	v_cndmask_b32_e64 v8, v12, -v12, s0
	s_mov_b32 s0, 0
	global_load_b32 v5, v[0:1], off
	v_mul_f32_e32 v7, v4, v8
	v_mul_f32_e64 v8, v8, -v6
	s_delay_alu instid0(VALU_DEP_1) | instskip(NEXT) | instid1(VALU_DEP_3)
	v_fmac_f32_e32 v8, v4, v11
	v_fmac_f32_e32 v7, v6, v11
	s_waitcnt vmcnt(1)
	s_delay_alu instid0(VALU_DEP_1) | instskip(NEXT) | instid1(VALU_DEP_1)
	v_mul_f32_e64 v6, v3, -v7
	v_fmac_f32_e32 v6, v8, v2
.LBB21_7:                               ; =>This Inner Loop Header: Depth=1
	s_waitcnt vmcnt(0)
	s_delay_alu instid0(VALU_DEP_1)
	v_add_f32_e32 v4, v5, v6
	global_atomic_cmpswap_b32 v4, v[0:1], v[4:5], off glc
	s_waitcnt vmcnt(0)
	v_cmp_eq_u32_e32 vcc_lo, v4, v5
	v_mov_b32_e32 v5, v4
	s_or_b32 s0, vcc_lo, s0
	s_delay_alu instid0(SALU_CYCLE_1)
	s_and_not1_b32 exec_lo, exec_lo, s0
	s_cbranch_execnz .LBB21_7
; %bb.8:
	s_or_b32 exec_lo, exec_lo, s0
	global_load_b32 v4, v[0:1], off offset:4
	v_mul_f32_e32 v5, v8, v3
	s_mov_b32 s0, 0
	s_delay_alu instid0(VALU_DEP_1)
	v_fmac_f32_e32 v5, v7, v2
.LBB21_9:                               ; =>This Inner Loop Header: Depth=1
	s_waitcnt vmcnt(0)
	s_delay_alu instid0(VALU_DEP_1)
	v_add_f32_e32 v3, v4, v5
	global_atomic_cmpswap_b32 v2, v[0:1], v[3:4], off offset:4 glc
	s_waitcnt vmcnt(0)
	v_cmp_eq_u32_e32 vcc_lo, v2, v4
	v_mov_b32_e32 v4, v2
	s_or_b32 s0, vcc_lo, s0
	s_delay_alu instid0(SALU_CYCLE_1)
	s_and_not1_b32 exec_lo, exec_lo, s0
	s_cbranch_execnz .LBB21_9
.LBB21_10:
	s_endpgm
	.section	.rodata,"a",@progbits
	.p2align	6, 0x0
	.amdhsa_kernel _ZN9rocsparseL17coomvt_aos_kernelILj1024El21rocsparse_complex_numIfES2_S2_S2_EEv20rocsparse_operation_lNS_24const_host_device_scalarIT4_EEPKT0_PKT1_PKT2_PT3_21rocsparse_index_base_b
		.amdhsa_group_segment_fixed_size 0
		.amdhsa_private_segment_fixed_size 0
		.amdhsa_kernarg_size 320
		.amdhsa_user_sgpr_count 15
		.amdhsa_user_sgpr_dispatch_ptr 0
		.amdhsa_user_sgpr_queue_ptr 0
		.amdhsa_user_sgpr_kernarg_segment_ptr 1
		.amdhsa_user_sgpr_dispatch_id 0
		.amdhsa_user_sgpr_private_segment_size 0
		.amdhsa_wavefront_size32 1
		.amdhsa_uses_dynamic_stack 0
		.amdhsa_enable_private_segment 0
		.amdhsa_system_sgpr_workgroup_id_x 1
		.amdhsa_system_sgpr_workgroup_id_y 0
		.amdhsa_system_sgpr_workgroup_id_z 0
		.amdhsa_system_sgpr_workgroup_info 0
		.amdhsa_system_vgpr_workitem_id 0
		.amdhsa_next_free_vgpr 13
		.amdhsa_next_free_sgpr 16
		.amdhsa_reserve_vcc 1
		.amdhsa_float_round_mode_32 0
		.amdhsa_float_round_mode_16_64 0
		.amdhsa_float_denorm_mode_32 3
		.amdhsa_float_denorm_mode_16_64 3
		.amdhsa_dx10_clamp 1
		.amdhsa_ieee_mode 1
		.amdhsa_fp16_overflow 0
		.amdhsa_workgroup_processor_mode 1
		.amdhsa_memory_ordered 1
		.amdhsa_forward_progress 0
		.amdhsa_shared_vgpr_count 0
		.amdhsa_exception_fp_ieee_invalid_op 0
		.amdhsa_exception_fp_denorm_src 0
		.amdhsa_exception_fp_ieee_div_zero 0
		.amdhsa_exception_fp_ieee_overflow 0
		.amdhsa_exception_fp_ieee_underflow 0
		.amdhsa_exception_fp_ieee_inexact 0
		.amdhsa_exception_int_div_zero 0
	.end_amdhsa_kernel
	.section	.text._ZN9rocsparseL17coomvt_aos_kernelILj1024El21rocsparse_complex_numIfES2_S2_S2_EEv20rocsparse_operation_lNS_24const_host_device_scalarIT4_EEPKT0_PKT1_PKT2_PT3_21rocsparse_index_base_b,"axG",@progbits,_ZN9rocsparseL17coomvt_aos_kernelILj1024El21rocsparse_complex_numIfES2_S2_S2_EEv20rocsparse_operation_lNS_24const_host_device_scalarIT4_EEPKT0_PKT1_PKT2_PT3_21rocsparse_index_base_b,comdat
.Lfunc_end21:
	.size	_ZN9rocsparseL17coomvt_aos_kernelILj1024El21rocsparse_complex_numIfES2_S2_S2_EEv20rocsparse_operation_lNS_24const_host_device_scalarIT4_EEPKT0_PKT1_PKT2_PT3_21rocsparse_index_base_b, .Lfunc_end21-_ZN9rocsparseL17coomvt_aos_kernelILj1024El21rocsparse_complex_numIfES2_S2_S2_EEv20rocsparse_operation_lNS_24const_host_device_scalarIT4_EEPKT0_PKT1_PKT2_PT3_21rocsparse_index_base_b
                                        ; -- End function
	.section	.AMDGPU.csdata,"",@progbits
; Kernel info:
; codeLenInByte = 556
; NumSgprs: 18
; NumVgprs: 13
; ScratchSize: 0
; MemoryBound: 0
; FloatMode: 240
; IeeeMode: 1
; LDSByteSize: 0 bytes/workgroup (compile time only)
; SGPRBlocks: 2
; VGPRBlocks: 1
; NumSGPRsForWavesPerEU: 18
; NumVGPRsForWavesPerEU: 13
; Occupancy: 16
; WaveLimiterHint : 1
; COMPUTE_PGM_RSRC2:SCRATCH_EN: 0
; COMPUTE_PGM_RSRC2:USER_SGPR: 15
; COMPUTE_PGM_RSRC2:TRAP_HANDLER: 0
; COMPUTE_PGM_RSRC2:TGID_X_EN: 1
; COMPUTE_PGM_RSRC2:TGID_Y_EN: 0
; COMPUTE_PGM_RSRC2:TGID_Z_EN: 0
; COMPUTE_PGM_RSRC2:TIDIG_COMP_CNT: 0
	.section	.text._ZN9rocsparseL26coomvn_aos_segmented_loopsILj256El21rocsparse_complex_numIfES2_S2_S2_EEvlT0_NS_24const_host_device_scalarIT4_EEPKS3_PKT1_PKT2_PT3_PS3_PS5_21rocsparse_index_base_b,"axG",@progbits,_ZN9rocsparseL26coomvn_aos_segmented_loopsILj256El21rocsparse_complex_numIfES2_S2_S2_EEvlT0_NS_24const_host_device_scalarIT4_EEPKS3_PKT1_PKT2_PT3_PS3_PS5_21rocsparse_index_base_b,comdat
	.globl	_ZN9rocsparseL26coomvn_aos_segmented_loopsILj256El21rocsparse_complex_numIfES2_S2_S2_EEvlT0_NS_24const_host_device_scalarIT4_EEPKS3_PKT1_PKT2_PT3_PS3_PS5_21rocsparse_index_base_b ; -- Begin function _ZN9rocsparseL26coomvn_aos_segmented_loopsILj256El21rocsparse_complex_numIfES2_S2_S2_EEvlT0_NS_24const_host_device_scalarIT4_EEPKS3_PKT1_PKT2_PT3_PS3_PS5_21rocsparse_index_base_b
	.p2align	8
	.type	_ZN9rocsparseL26coomvn_aos_segmented_loopsILj256El21rocsparse_complex_numIfES2_S2_S2_EEvlT0_NS_24const_host_device_scalarIT4_EEPKS3_PKT1_PKT2_PT3_PS3_PS5_21rocsparse_index_base_b,@function
_ZN9rocsparseL26coomvn_aos_segmented_loopsILj256El21rocsparse_complex_numIfES2_S2_S2_EEvlT0_NS_24const_host_device_scalarIT4_EEPKS3_PKT1_PKT2_PT3_PS3_PS5_21rocsparse_index_base_b: ; @_ZN9rocsparseL26coomvn_aos_segmented_loopsILj256El21rocsparse_complex_numIfES2_S2_S2_EEvlT0_NS_24const_host_device_scalarIT4_EEPKS3_PKT1_PKT2_PT3_PS3_PS5_21rocsparse_index_base_b
; %bb.0:
	s_clause 0x1
	s_load_b64 s[26:27], s[0:1], 0x48
	s_load_b64 s[2:3], s[0:1], 0x10
	s_mov_b32 s24, s15
	s_waitcnt lgkmcnt(0)
	s_bitcmp1_b32 s27, 0
	v_mov_b32_e32 v13, s2
	s_cselect_b32 s4, -1, 0
	s_delay_alu instid0(SALU_CYCLE_1)
	s_and_b32 vcc_lo, exec_lo, s4
	s_xor_b32 s4, s4, -1
	s_cbranch_vccnz .LBB22_2
; %bb.1:
	v_dual_mov_b32 v1, s2 :: v_dual_mov_b32 v2, s3
	flat_load_b32 v13, v[1:2]
.LBB22_2:
	v_mov_b32_e32 v14, s3
	s_and_not1_b32 vcc_lo, exec_lo, s4
	s_cbranch_vccnz .LBB22_4
; %bb.3:
	v_dual_mov_b32 v1, s2 :: v_dual_mov_b32 v2, s3
	flat_load_b32 v14, v[1:2] offset:4
.LBB22_4:
	s_waitcnt vmcnt(0) lgkmcnt(0)
	v_cmp_neq_f32_e32 vcc_lo, 0, v13
	v_cmp_neq_f32_e64 s2, 0, v14
	s_mov_b32 s25, 0
	s_delay_alu instid0(VALU_DEP_1) | instskip(NEXT) | instid1(SALU_CYCLE_1)
	s_or_b32 s2, vcc_lo, s2
	s_and_saveexec_b32 s3, s2
	s_cbranch_execz .LBB22_91
; %bb.5:
	s_clause 0x2
	s_load_b128 s[16:19], s[0:1], 0x0
	s_load_b128 s[20:23], s[0:1], 0x18
	s_load_b64 s[34:35], s[0:1], 0x28
	v_mov_b32_e32 v1, 0
	v_mov_b32_e32 v3, -1
	v_mov_b32_e32 v4, -1
	s_delay_alu instid0(VALU_DEP_3)
	v_mov_b32_e32 v2, v1
	s_waitcnt lgkmcnt(0)
	s_mul_i32 s3, s24, s19
	s_mul_hi_u32 s4, s24, s18
	s_mul_i32 s2, s24, s18
	s_add_i32 s3, s4, s3
	s_delay_alu instid0(SALU_CYCLE_1) | instskip(NEXT) | instid1(SALU_CYCLE_1)
	s_lshl_b64 s[2:3], s[2:3], 8
	v_mov_b32_e32 v6, s3
	v_or_b32_e32 v5, s2, v0
	s_mov_b32 s2, exec_lo
	s_delay_alu instid0(VALU_DEP_1)
	v_cmpx_gt_i64_e64 s[16:17], v[5:6]
	s_cbranch_execz .LBB22_7
; %bb.6:
	v_lshlrev_b64 v[1:2], 4, v[5:6]
	v_lshlrev_b64 v[3:4], 3, v[5:6]
	s_ashr_i32 s27, s26, 31
	s_delay_alu instid0(SALU_CYCLE_1) | instskip(NEXT) | instid1(VALU_DEP_2)
	s_lshl_b64 s[4:5], s[26:27], 3
	v_add_co_u32 v1, vcc_lo, s20, v1
	s_delay_alu instid0(VALU_DEP_3) | instskip(SKIP_3) | instid1(VALU_DEP_1)
	v_add_co_ci_u32_e32 v2, vcc_lo, s21, v2, vcc_lo
	global_load_b128 v[7:10], v[1:2], off slc dlc
	s_waitcnt vmcnt(0)
	v_lshlrev_b64 v[1:2], 3, v[9:10]
	v_add_co_u32 v9, vcc_lo, s34, v1
	s_delay_alu instid0(VALU_DEP_2) | instskip(SKIP_2) | instid1(VALU_DEP_4)
	v_add_co_ci_u32_e32 v10, vcc_lo, s35, v2, vcc_lo
	v_add_co_u32 v1, vcc_lo, s22, v3
	v_add_co_ci_u32_e32 v2, vcc_lo, s23, v4, vcc_lo
	v_sub_co_u32 v3, vcc_lo, v9, s4
	s_delay_alu instid0(VALU_DEP_4)
	v_subrev_co_ci_u32_e32 v4, vcc_lo, s5, v10, vcc_lo
	global_load_b64 v[9:10], v[1:2], off slc dlc
	global_load_b64 v[11:12], v[3:4], off
	v_sub_co_u32 v3, vcc_lo, v7, s26
	v_subrev_co_ci_u32_e32 v4, vcc_lo, 0, v8, vcc_lo
	s_waitcnt vmcnt(0)
	v_mul_f32_e64 v1, v12, -v10
	v_mul_f32_e32 v2, v9, v12
	s_delay_alu instid0(VALU_DEP_2) | instskip(NEXT) | instid1(VALU_DEP_2)
	v_fmac_f32_e32 v1, v9, v11
	v_fmac_f32_e32 v2, v10, v11
.LBB22_7:
	s_or_b32 exec_lo, exec_lo, s2
	v_lshlrev_b32_e32 v15, 3, v0
	v_cmp_eq_u32_e64 s2, 0, v0
	v_cmp_ne_u32_e64 s3, 0, v0
	s_delay_alu instid0(VALU_DEP_3)
	v_or_b32_e32 v16, 0x800, v15
	v_add_nc_u32_e32 v17, -8, v15
	ds_store_2addr_stride64_b64 v15, v[3:4], v[1:2] offset1:4
	s_waitcnt lgkmcnt(0)
	s_barrier
	buffer_gl0_inv
	s_and_saveexec_b32 s4, s3
	s_cbranch_execz .LBB22_11
; %bb.8:
	ds_load_b64 v[7:8], v17
	s_mov_b32 s5, exec_lo
	s_waitcnt lgkmcnt(0)
	v_cmpx_eq_u64_e64 v[3:4], v[7:8]
	s_cbranch_execz .LBB22_10
; %bb.9:
	v_add_nc_u32_e32 v7, -8, v16
	ds_load_b64 v[7:8], v7
	s_waitcnt lgkmcnt(0)
	v_dual_add_f32 v1, v1, v7 :: v_dual_add_f32 v2, v2, v8
.LBB22_10:
	s_or_b32 exec_lo, exec_lo, s5
.LBB22_11:
	s_delay_alu instid0(SALU_CYCLE_1)
	s_or_b32 exec_lo, exec_lo, s4
	v_cmp_lt_u32_e64 s4, 1, v0
	v_add_nc_u32_e32 v18, -16, v15
	s_barrier
	buffer_gl0_inv
	ds_store_b64 v16, v[1:2]
	s_waitcnt lgkmcnt(0)
	s_barrier
	buffer_gl0_inv
	s_and_saveexec_b32 s5, s4
	s_cbranch_execz .LBB22_15
; %bb.12:
	ds_load_b64 v[7:8], v18
	s_mov_b32 s6, exec_lo
	s_waitcnt lgkmcnt(0)
	v_cmpx_eq_u64_e64 v[3:4], v[7:8]
	s_cbranch_execz .LBB22_14
; %bb.13:
	v_add_nc_u32_e32 v7, -16, v16
	ds_load_b64 v[7:8], v7
	s_waitcnt lgkmcnt(0)
	v_dual_add_f32 v1, v1, v7 :: v_dual_add_f32 v2, v2, v8
.LBB22_14:
	s_or_b32 exec_lo, exec_lo, s6
.LBB22_15:
	s_delay_alu instid0(SALU_CYCLE_1)
	s_or_b32 exec_lo, exec_lo, s5
	v_cmp_lt_u32_e64 s5, 3, v0
	v_subrev_nc_u32_e32 v19, 32, v15
	s_barrier
	buffer_gl0_inv
	ds_store_b64 v16, v[1:2]
	s_waitcnt lgkmcnt(0)
	s_barrier
	buffer_gl0_inv
	s_and_saveexec_b32 s6, s5
	s_cbranch_execz .LBB22_19
; %bb.16:
	ds_load_b64 v[7:8], v19
	s_mov_b32 s7, exec_lo
	s_waitcnt lgkmcnt(0)
	v_cmpx_eq_u64_e64 v[3:4], v[7:8]
	s_cbranch_execz .LBB22_18
; %bb.17:
	v_subrev_nc_u32_e32 v7, 32, v16
	ds_load_b64 v[7:8], v7
	s_waitcnt lgkmcnt(0)
	v_dual_add_f32 v1, v1, v7 :: v_dual_add_f32 v2, v2, v8
.LBB22_18:
	s_or_b32 exec_lo, exec_lo, s7
.LBB22_19:
	s_delay_alu instid0(SALU_CYCLE_1)
	s_or_b32 exec_lo, exec_lo, s6
	v_cmp_lt_u32_e64 s6, 7, v0
	v_subrev_nc_u32_e32 v20, 64, v15
	s_barrier
	buffer_gl0_inv
	ds_store_b64 v16, v[1:2]
	s_waitcnt lgkmcnt(0)
	s_barrier
	buffer_gl0_inv
	s_and_saveexec_b32 s7, s6
	s_cbranch_execz .LBB22_23
; %bb.20:
	ds_load_b64 v[7:8], v20
	s_mov_b32 s8, exec_lo
	s_waitcnt lgkmcnt(0)
	v_cmpx_eq_u64_e64 v[3:4], v[7:8]
	s_cbranch_execz .LBB22_22
; %bb.21:
	v_subrev_nc_u32_e32 v7, 64, v16
	ds_load_b64 v[7:8], v7
	s_waitcnt lgkmcnt(0)
	v_dual_add_f32 v1, v1, v7 :: v_dual_add_f32 v2, v2, v8
.LBB22_22:
	s_or_b32 exec_lo, exec_lo, s8
.LBB22_23:
	s_delay_alu instid0(SALU_CYCLE_1)
	s_or_b32 exec_lo, exec_lo, s7
	v_cmp_lt_u32_e64 s7, 15, v0
	v_add_nc_u32_e32 v21, 0xffffff80, v15
	s_barrier
	buffer_gl0_inv
	ds_store_b64 v16, v[1:2]
	s_waitcnt lgkmcnt(0)
	s_barrier
	buffer_gl0_inv
	s_and_saveexec_b32 s8, s7
	s_cbranch_execz .LBB22_27
; %bb.24:
	ds_load_b64 v[7:8], v21
	s_mov_b32 s9, exec_lo
	s_waitcnt lgkmcnt(0)
	v_cmpx_eq_u64_e64 v[3:4], v[7:8]
	s_cbranch_execz .LBB22_26
; %bb.25:
	v_add_nc_u32_e32 v7, 0xffffff80, v16
	ds_load_b64 v[7:8], v7
	s_waitcnt lgkmcnt(0)
	v_dual_add_f32 v1, v1, v7 :: v_dual_add_f32 v2, v2, v8
.LBB22_26:
	s_or_b32 exec_lo, exec_lo, s9
.LBB22_27:
	s_delay_alu instid0(SALU_CYCLE_1)
	s_or_b32 exec_lo, exec_lo, s8
	v_cmp_lt_u32_e64 s8, 31, v0
	v_add_nc_u32_e32 v22, 0xffffff00, v15
	s_barrier
	buffer_gl0_inv
	ds_store_b64 v16, v[1:2]
	s_waitcnt lgkmcnt(0)
	s_barrier
	buffer_gl0_inv
	s_and_saveexec_b32 s9, s8
	s_cbranch_execz .LBB22_31
; %bb.28:
	ds_load_b64 v[7:8], v22
	s_mov_b32 s10, exec_lo
	s_waitcnt lgkmcnt(0)
	v_cmpx_eq_u64_e64 v[3:4], v[7:8]
	s_cbranch_execz .LBB22_30
; %bb.29:
	v_add_nc_u32_e32 v7, 0xffffff00, v16
	ds_load_b64 v[7:8], v7
	s_waitcnt lgkmcnt(0)
	v_dual_add_f32 v1, v1, v7 :: v_dual_add_f32 v2, v2, v8
.LBB22_30:
	s_or_b32 exec_lo, exec_lo, s10
.LBB22_31:
	;; [unrolled: 26-line block ×3, first 2 shown]
	s_delay_alu instid0(SALU_CYCLE_1)
	s_or_b32 exec_lo, exec_lo, s10
	s_load_b64 s[28:29], s[0:1], 0x30
	v_cmp_lt_u32_e64 s10, 0x7f, v0
	v_add_nc_u32_e32 v24, 0xfffffc00, v15
	s_waitcnt lgkmcnt(0)
	s_barrier
	buffer_gl0_inv
	ds_store_b64 v16, v[1:2]
	s_waitcnt lgkmcnt(0)
	s_barrier
	buffer_gl0_inv
	s_and_saveexec_b32 s11, s10
	s_cbranch_execz .LBB22_39
; %bb.36:
	ds_load_b64 v[7:8], v24
	s_mov_b32 s12, exec_lo
	s_waitcnt lgkmcnt(0)
	v_cmpx_eq_u64_e64 v[3:4], v[7:8]
	s_cbranch_execz .LBB22_38
; %bb.37:
	v_add_nc_u32_e32 v7, 0xfffffc00, v16
	ds_load_b64 v[7:8], v7
	s_waitcnt lgkmcnt(0)
	v_dual_add_f32 v1, v1, v7 :: v_dual_add_f32 v2, v2, v8
.LBB22_38:
	s_or_b32 exec_lo, exec_lo, s12
.LBB22_39:
	s_delay_alu instid0(SALU_CYCLE_1)
	s_or_b32 exec_lo, exec_lo, s11
	v_cmp_gt_u32_e64 s11, 0xff, v0
	s_barrier
	buffer_gl0_inv
	ds_store_b64 v16, v[1:2]
	s_waitcnt lgkmcnt(0)
	s_barrier
	buffer_gl0_inv
	s_and_saveexec_b32 s13, s11
	s_cbranch_execz .LBB22_42
; %bb.40:
	ds_load_b64 v[7:8], v15 offset:8
	v_cmp_lt_i64_e64 s12, -1, v[3:4]
	s_waitcnt lgkmcnt(0)
	v_cmp_ne_u64_e32 vcc_lo, v[3:4], v[7:8]
	s_delay_alu instid0(VALU_DEP_2) | instskip(NEXT) | instid1(SALU_CYCLE_1)
	s_and_b32 s12, s12, vcc_lo
	s_and_b32 exec_lo, exec_lo, s12
	s_cbranch_execz .LBB22_42
; %bb.41:
	v_lshlrev_b64 v[7:8], 3, v[3:4]
	s_delay_alu instid0(VALU_DEP_1) | instskip(NEXT) | instid1(VALU_DEP_2)
	v_add_co_u32 v7, vcc_lo, s28, v7
	v_add_co_ci_u32_e32 v8, vcc_lo, s29, v8, vcc_lo
	global_load_b64 v[9:10], v[7:8], off
	s_waitcnt vmcnt(0)
	v_fma_f32 v9, v13, v1, v9
	v_fmac_f32_e32 v10, v14, v1
	s_delay_alu instid0(VALU_DEP_2) | instskip(NEXT) | instid1(VALU_DEP_2)
	v_fma_f32 v9, -v14, v2, v9
	v_fmac_f32_e32 v10, v13, v2
	global_store_b64 v[7:8], v[9:10], off
.LBB22_42:
	s_or_b32 exec_lo, exec_lo, s13
	s_load_b128 s[12:15], s[0:1], 0x38
	v_cmp_lt_i64_e64 s0, s[18:19], 2
	s_delay_alu instid0(VALU_DEP_1)
	s_and_b32 vcc_lo, exec_lo, s0
	s_cbranch_vccnz .LBB22_89
; %bb.43:
	s_add_u32 s30, s18, -1
	s_addc_u32 s31, s19, -1
	s_ashr_i32 s27, s26, 31
	s_mul_i32 s0, s19, s24
	s_lshl_b64 s[36:37], s[26:27], 3
	s_mul_hi_u32 s19, s18, s24
	s_sub_u32 s1, s34, s36
	s_subb_u32 s27, s35, s37
	s_add_i32 s19, s19, s0
	s_mul_i32 s18, s18, s24
	v_lshlrev_b32_e32 v1, 4, v0
	s_lshl_b64 s[34:35], s[18:19], 11
	v_add_nc_u32_e32 v25, -8, v16
	s_add_u32 s0, s22, s34
	s_addc_u32 s22, s23, s35
	s_lshl_b64 s[18:19], s[18:19], 12
	v_add_co_u32 v2, s0, s0, v15
	s_delay_alu instid0(VALU_DEP_1) | instskip(SKIP_3) | instid1(VALU_DEP_1)
	v_add_co_ci_u32_e64 v3, null, s22, 0, s0
	s_add_u32 s0, s20, s18
	s_addc_u32 s18, s21, s19
	v_add_co_u32 v1, s0, s0, v1
	v_add_co_ci_u32_e64 v4, null, s18, 0, s0
	v_add_co_u32 v7, vcc_lo, 0x800, v2
	v_add_co_ci_u32_e32 v8, vcc_lo, 0, v3, vcc_lo
	s_delay_alu instid0(VALU_DEP_4) | instskip(NEXT) | instid1(VALU_DEP_4)
	v_add_co_u32 v9, vcc_lo, 0x1008, v1
	v_add_co_ci_u32_e32 v10, vcc_lo, 0, v4, vcc_lo
	v_add_co_u32 v5, vcc_lo, 0x100, v5
	v_dual_mov_b32 v33, 0 :: v_dual_add_nc_u32 v26, -16, v16
	v_subrev_nc_u32_e32 v27, 32, v16
	v_subrev_nc_u32_e32 v28, 64, v16
	v_add_nc_u32_e32 v29, 0xffffff80, v16
	v_add_nc_u32_e32 v30, 0xffffff00, v16
	;; [unrolled: 1-line block ×4, first 2 shown]
	v_add_co_ci_u32_e32 v6, vcc_lo, 0, v6, vcc_lo
	s_mov_b64 s[18:19], 0
	s_branch .LBB22_45
.LBB22_44:                              ;   in Loop: Header=BB22_45 Depth=1
	s_or_b32 exec_lo, exec_lo, s20
	v_add_co_u32 v7, vcc_lo, 0x800, v7
	s_add_u32 s18, s18, 1
	v_add_co_ci_u32_e32 v8, vcc_lo, 0, v8, vcc_lo
	s_addc_u32 s19, s19, 0
	v_add_co_u32 v9, vcc_lo, 0x1000, v9
	v_cmp_le_u64_e64 s0, s[30:31], s[18:19]
	v_add_co_ci_u32_e32 v10, vcc_lo, 0, v10, vcc_lo
	v_add_co_u32 v5, vcc_lo, 0x100, v5
	v_add_co_ci_u32_e32 v6, vcc_lo, 0, v6, vcc_lo
	s_delay_alu instid0(VALU_DEP_4)
	s_and_b32 vcc_lo, exec_lo, s0
	s_cbranch_vccnz .LBB22_89
.LBB22_45:                              ; =>This Inner Loop Header: Depth=1
	v_dual_mov_b32 v3, -1 :: v_dual_mov_b32 v2, 0
	v_dual_mov_b32 v4, -1 :: v_dual_mov_b32 v1, 0
	s_mov_b32 s0, exec_lo
	v_cmpx_gt_i64_e64 s[16:17], v[5:6]
	s_cbranch_execz .LBB22_47
; %bb.46:                               ;   in Loop: Header=BB22_45 Depth=1
	global_load_b128 v[34:37], v[9:10], off offset:-8 slc dlc
	s_waitcnt vmcnt(0)
	v_lshlrev_b64 v[1:2], 3, v[36:37]
	s_delay_alu instid0(VALU_DEP_1) | instskip(NEXT) | instid1(VALU_DEP_2)
	v_add_co_u32 v1, vcc_lo, s1, v1
	v_add_co_ci_u32_e32 v2, vcc_lo, s27, v2, vcc_lo
	v_sub_co_u32 v3, vcc_lo, v34, s26
	global_load_b64 v[11:12], v[7:8], off slc dlc
	global_load_b64 v[36:37], v[1:2], off
	v_subrev_co_ci_u32_e32 v4, vcc_lo, 0, v35, vcc_lo
	s_waitcnt vmcnt(0)
	v_mul_f32_e64 v1, v37, -v12
	v_mul_f32_e32 v2, v11, v37
	s_delay_alu instid0(VALU_DEP_2) | instskip(NEXT) | instid1(VALU_DEP_2)
	v_fmac_f32_e32 v1, v11, v36
	v_fmac_f32_e32 v2, v12, v36
.LBB22_47:                              ;   in Loop: Header=BB22_45 Depth=1
	s_or_b32 exec_lo, exec_lo, s0
	s_and_saveexec_b32 s0, s2
	s_cbranch_execz .LBB22_54
; %bb.48:                               ;   in Loop: Header=BB22_45 Depth=1
	ds_load_b64 v[11:12], v33 offset:2040
	s_mov_b32 s20, exec_lo
	s_waitcnt lgkmcnt(0)
	v_cmpx_ne_u64_e64 v[3:4], v[11:12]
	s_xor_b32 s20, exec_lo, s20
	s_cbranch_execz .LBB22_51
; %bb.49:                               ;   in Loop: Header=BB22_45 Depth=1
	v_cmp_gt_i64_e32 vcc_lo, 0, v[11:12]
	s_cbranch_vccnz .LBB22_51
; %bb.50:                               ;   in Loop: Header=BB22_45 Depth=1
	v_lshlrev_b64 v[11:12], 3, v[11:12]
	ds_load_b64 v[36:37], v33 offset:4088
	v_add_co_u32 v11, vcc_lo, s28, v11
	v_add_co_ci_u32_e32 v12, vcc_lo, s29, v12, vcc_lo
	global_load_b64 v[34:35], v[11:12], off
	s_waitcnt vmcnt(0) lgkmcnt(0)
	v_fma_f32 v34, v13, v36, v34
	v_fmac_f32_e32 v35, v14, v36
	s_delay_alu instid0(VALU_DEP_2) | instskip(NEXT) | instid1(VALU_DEP_2)
	v_fma_f32 v34, -v14, v37, v34
	v_fmac_f32_e32 v35, v13, v37
	global_store_b64 v[11:12], v[34:35], off
.LBB22_51:                              ;   in Loop: Header=BB22_45 Depth=1
	s_and_not1_saveexec_b32 s20, s20
	s_cbranch_execz .LBB22_53
; %bb.52:                               ;   in Loop: Header=BB22_45 Depth=1
	ds_load_b64 v[11:12], v33 offset:4088
	s_waitcnt lgkmcnt(0)
	v_dual_add_f32 v1, v1, v11 :: v_dual_add_f32 v2, v2, v12
.LBB22_53:                              ;   in Loop: Header=BB22_45 Depth=1
	s_or_b32 exec_lo, exec_lo, s20
.LBB22_54:                              ;   in Loop: Header=BB22_45 Depth=1
	s_delay_alu instid0(SALU_CYCLE_1)
	s_or_b32 exec_lo, exec_lo, s0
	s_waitcnt lgkmcnt(0)
	s_waitcnt_vscnt null, 0x0
	s_barrier
	buffer_gl0_inv
	ds_store_b64 v15, v[3:4]
	ds_store_b64 v16, v[1:2]
	s_waitcnt lgkmcnt(0)
	s_barrier
	buffer_gl0_inv
	s_and_saveexec_b32 s0, s3
	s_cbranch_execz .LBB22_58
; %bb.55:                               ;   in Loop: Header=BB22_45 Depth=1
	ds_load_b64 v[11:12], v17
	s_mov_b32 s20, exec_lo
	s_waitcnt lgkmcnt(0)
	v_cmpx_eq_u64_e64 v[3:4], v[11:12]
	s_cbranch_execz .LBB22_57
; %bb.56:                               ;   in Loop: Header=BB22_45 Depth=1
	ds_load_b64 v[11:12], v25
	s_waitcnt lgkmcnt(0)
	v_dual_add_f32 v1, v1, v11 :: v_dual_add_f32 v2, v2, v12
.LBB22_57:                              ;   in Loop: Header=BB22_45 Depth=1
	s_or_b32 exec_lo, exec_lo, s20
.LBB22_58:                              ;   in Loop: Header=BB22_45 Depth=1
	s_delay_alu instid0(SALU_CYCLE_1)
	s_or_b32 exec_lo, exec_lo, s0
	s_barrier
	buffer_gl0_inv
	ds_store_b64 v16, v[1:2]
	s_waitcnt lgkmcnt(0)
	s_barrier
	buffer_gl0_inv
	s_and_saveexec_b32 s0, s4
	s_cbranch_execz .LBB22_62
; %bb.59:                               ;   in Loop: Header=BB22_45 Depth=1
	ds_load_b64 v[11:12], v18
	s_mov_b32 s20, exec_lo
	s_waitcnt lgkmcnt(0)
	v_cmpx_eq_u64_e64 v[3:4], v[11:12]
	s_cbranch_execz .LBB22_61
; %bb.60:                               ;   in Loop: Header=BB22_45 Depth=1
	ds_load_b64 v[11:12], v26
	s_waitcnt lgkmcnt(0)
	v_dual_add_f32 v1, v1, v11 :: v_dual_add_f32 v2, v2, v12
.LBB22_61:                              ;   in Loop: Header=BB22_45 Depth=1
	s_or_b32 exec_lo, exec_lo, s20
.LBB22_62:                              ;   in Loop: Header=BB22_45 Depth=1
	s_delay_alu instid0(SALU_CYCLE_1)
	s_or_b32 exec_lo, exec_lo, s0
	s_barrier
	buffer_gl0_inv
	;; [unrolled: 23-line block ×8, first 2 shown]
	ds_store_b64 v16, v[1:2]
	s_waitcnt lgkmcnt(0)
	s_barrier
	buffer_gl0_inv
	s_and_saveexec_b32 s20, s11
	s_cbranch_execz .LBB22_44
; %bb.87:                               ;   in Loop: Header=BB22_45 Depth=1
	ds_load_b64 v[11:12], v15 offset:8
	v_cmp_lt_i64_e64 s0, -1, v[3:4]
	s_waitcnt lgkmcnt(0)
	v_cmp_ne_u64_e32 vcc_lo, v[3:4], v[11:12]
	s_delay_alu instid0(VALU_DEP_2) | instskip(NEXT) | instid1(SALU_CYCLE_1)
	s_and_b32 s0, s0, vcc_lo
	s_and_b32 exec_lo, exec_lo, s0
	s_cbranch_execz .LBB22_44
; %bb.88:                               ;   in Loop: Header=BB22_45 Depth=1
	v_lshlrev_b64 v[11:12], 3, v[3:4]
	s_delay_alu instid0(VALU_DEP_1) | instskip(NEXT) | instid1(VALU_DEP_2)
	v_add_co_u32 v11, vcc_lo, s28, v11
	v_add_co_ci_u32_e32 v12, vcc_lo, s29, v12, vcc_lo
	global_load_b64 v[34:35], v[11:12], off
	s_waitcnt vmcnt(0)
	v_fma_f32 v34, v13, v1, v34
	v_fmac_f32_e32 v35, v14, v1
	s_delay_alu instid0(VALU_DEP_2) | instskip(NEXT) | instid1(VALU_DEP_2)
	v_fma_f32 v34, -v14, v2, v34
	v_fmac_f32_e32 v35, v13, v2
	global_store_b64 v[11:12], v[34:35], off
	s_branch .LBB22_44
.LBB22_89:
	v_cmp_eq_u32_e32 vcc_lo, 0xff, v0
	s_and_b32 exec_lo, exec_lo, vcc_lo
	s_cbranch_execz .LBB22_91
; %bb.90:
	v_mul_f32_e64 v5, v2, -v14
	v_mul_f32_e32 v6, v13, v2
	s_lshl_b64 s[0:1], s[24:25], 3
	v_mov_b32_e32 v0, 0
	s_waitcnt lgkmcnt(0)
	s_add_u32 s2, s12, s0
	v_fmac_f32_e32 v5, v13, v1
	v_fmac_f32_e32 v6, v14, v1
	s_addc_u32 s3, s13, s1
	s_add_u32 s0, s14, s0
	s_addc_u32 s1, s15, s1
	s_clause 0x1
	global_store_b64 v0, v[3:4], s[2:3] glc slc dlc
	global_store_b64 v0, v[5:6], s[0:1] glc slc dlc
.LBB22_91:
	s_nop 0
	s_sendmsg sendmsg(MSG_DEALLOC_VGPRS)
	s_endpgm
	.section	.rodata,"a",@progbits
	.p2align	6, 0x0
	.amdhsa_kernel _ZN9rocsparseL26coomvn_aos_segmented_loopsILj256El21rocsparse_complex_numIfES2_S2_S2_EEvlT0_NS_24const_host_device_scalarIT4_EEPKS3_PKT1_PKT2_PT3_PS3_PS5_21rocsparse_index_base_b
		.amdhsa_group_segment_fixed_size 4096
		.amdhsa_private_segment_fixed_size 0
		.amdhsa_kernarg_size 80
		.amdhsa_user_sgpr_count 15
		.amdhsa_user_sgpr_dispatch_ptr 0
		.amdhsa_user_sgpr_queue_ptr 0
		.amdhsa_user_sgpr_kernarg_segment_ptr 1
		.amdhsa_user_sgpr_dispatch_id 0
		.amdhsa_user_sgpr_private_segment_size 0
		.amdhsa_wavefront_size32 1
		.amdhsa_uses_dynamic_stack 0
		.amdhsa_enable_private_segment 0
		.amdhsa_system_sgpr_workgroup_id_x 1
		.amdhsa_system_sgpr_workgroup_id_y 0
		.amdhsa_system_sgpr_workgroup_id_z 0
		.amdhsa_system_sgpr_workgroup_info 0
		.amdhsa_system_vgpr_workitem_id 0
		.amdhsa_next_free_vgpr 38
		.amdhsa_next_free_sgpr 38
		.amdhsa_reserve_vcc 1
		.amdhsa_float_round_mode_32 0
		.amdhsa_float_round_mode_16_64 0
		.amdhsa_float_denorm_mode_32 3
		.amdhsa_float_denorm_mode_16_64 3
		.amdhsa_dx10_clamp 1
		.amdhsa_ieee_mode 1
		.amdhsa_fp16_overflow 0
		.amdhsa_workgroup_processor_mode 1
		.amdhsa_memory_ordered 1
		.amdhsa_forward_progress 0
		.amdhsa_shared_vgpr_count 0
		.amdhsa_exception_fp_ieee_invalid_op 0
		.amdhsa_exception_fp_denorm_src 0
		.amdhsa_exception_fp_ieee_div_zero 0
		.amdhsa_exception_fp_ieee_overflow 0
		.amdhsa_exception_fp_ieee_underflow 0
		.amdhsa_exception_fp_ieee_inexact 0
		.amdhsa_exception_int_div_zero 0
	.end_amdhsa_kernel
	.section	.text._ZN9rocsparseL26coomvn_aos_segmented_loopsILj256El21rocsparse_complex_numIfES2_S2_S2_EEvlT0_NS_24const_host_device_scalarIT4_EEPKS3_PKT1_PKT2_PT3_PS3_PS5_21rocsparse_index_base_b,"axG",@progbits,_ZN9rocsparseL26coomvn_aos_segmented_loopsILj256El21rocsparse_complex_numIfES2_S2_S2_EEvlT0_NS_24const_host_device_scalarIT4_EEPKS3_PKT1_PKT2_PT3_PS3_PS5_21rocsparse_index_base_b,comdat
.Lfunc_end22:
	.size	_ZN9rocsparseL26coomvn_aos_segmented_loopsILj256El21rocsparse_complex_numIfES2_S2_S2_EEvlT0_NS_24const_host_device_scalarIT4_EEPKS3_PKT1_PKT2_PT3_PS3_PS5_21rocsparse_index_base_b, .Lfunc_end22-_ZN9rocsparseL26coomvn_aos_segmented_loopsILj256El21rocsparse_complex_numIfES2_S2_S2_EEvlT0_NS_24const_host_device_scalarIT4_EEPKS3_PKT1_PKT2_PT3_PS3_PS5_21rocsparse_index_base_b
                                        ; -- End function
	.section	.AMDGPU.csdata,"",@progbits
; Kernel info:
; codeLenInByte = 3320
; NumSgprs: 40
; NumVgprs: 38
; ScratchSize: 0
; MemoryBound: 0
; FloatMode: 240
; IeeeMode: 1
; LDSByteSize: 4096 bytes/workgroup (compile time only)
; SGPRBlocks: 4
; VGPRBlocks: 4
; NumSGPRsForWavesPerEU: 40
; NumVGPRsForWavesPerEU: 38
; Occupancy: 16
; WaveLimiterHint : 1
; COMPUTE_PGM_RSRC2:SCRATCH_EN: 0
; COMPUTE_PGM_RSRC2:USER_SGPR: 15
; COMPUTE_PGM_RSRC2:TRAP_HANDLER: 0
; COMPUTE_PGM_RSRC2:TGID_X_EN: 1
; COMPUTE_PGM_RSRC2:TGID_Y_EN: 0
; COMPUTE_PGM_RSRC2:TGID_Z_EN: 0
; COMPUTE_PGM_RSRC2:TIDIG_COMP_CNT: 0
	.section	.text._ZN9rocsparseL29coomvn_segmented_loops_reduceILj256El21rocsparse_complex_numIfES2_EEvT0_NS_24const_host_device_scalarIT2_EEPKS3_PKS5_PT1_b,"axG",@progbits,_ZN9rocsparseL29coomvn_segmented_loops_reduceILj256El21rocsparse_complex_numIfES2_EEvT0_NS_24const_host_device_scalarIT2_EEPKS3_PKS5_PT1_b,comdat
	.globl	_ZN9rocsparseL29coomvn_segmented_loops_reduceILj256El21rocsparse_complex_numIfES2_EEvT0_NS_24const_host_device_scalarIT2_EEPKS3_PKS5_PT1_b ; -- Begin function _ZN9rocsparseL29coomvn_segmented_loops_reduceILj256El21rocsparse_complex_numIfES2_EEvT0_NS_24const_host_device_scalarIT2_EEPKS3_PKS5_PT1_b
	.p2align	8
	.type	_ZN9rocsparseL29coomvn_segmented_loops_reduceILj256El21rocsparse_complex_numIfES2_EEvT0_NS_24const_host_device_scalarIT2_EEPKS3_PKS5_PT1_b,@function
_ZN9rocsparseL29coomvn_segmented_loops_reduceILj256El21rocsparse_complex_numIfES2_EEvT0_NS_24const_host_device_scalarIT2_EEPKS3_PKS5_PT1_b: ; @_ZN9rocsparseL29coomvn_segmented_loops_reduceILj256El21rocsparse_complex_numIfES2_EEvT0_NS_24const_host_device_scalarIT2_EEPKS3_PKS5_PT1_b
; %bb.0:
	s_clause 0x2
	s_load_b32 s4, s[0:1], 0x28
	s_load_b64 s[2:3], s[0:1], 0x8
	s_load_b128 s[12:15], s[0:1], 0x0
	s_waitcnt lgkmcnt(0)
	s_bitcmp1_b32 s4, 0
	v_mov_b32_e32 v1, s2
	s_cselect_b32 s4, -1, 0
	s_delay_alu instid0(SALU_CYCLE_1)
	s_and_b32 vcc_lo, exec_lo, s4
	s_xor_b32 s2, s4, -1
	s_cbranch_vccnz .LBB23_2
; %bb.1:
	v_dual_mov_b32 v1, s14 :: v_dual_mov_b32 v2, s15
	flat_load_b32 v1, v[1:2]
.LBB23_2:
	v_mov_b32_e32 v2, s3
	s_and_not1_b32 vcc_lo, exec_lo, s2
	s_cbranch_vccnz .LBB23_4
; %bb.3:
	v_dual_mov_b32 v2, s14 :: v_dual_mov_b32 v3, s15
	flat_load_b32 v2, v[2:3] offset:4
.LBB23_4:
	s_waitcnt vmcnt(0) lgkmcnt(0)
	v_cmp_neq_f32_e32 vcc_lo, 0, v1
	v_cmp_neq_f32_e64 s2, 0, v2
	s_delay_alu instid0(VALU_DEP_1) | instskip(NEXT) | instid1(SALU_CYCLE_1)
	s_or_b32 s2, vcc_lo, s2
	s_and_saveexec_b32 s3, s2
	s_cbranch_execz .LBB23_46
; %bb.5:
	v_cmp_lt_i64_e64 s2, s[12:13], 1
	s_delay_alu instid0(VALU_DEP_1)
	s_and_b32 vcc_lo, exec_lo, s2
	s_cbranch_vccnz .LBB23_46
; %bb.6:
	s_clause 0x1
	s_load_b128 s[16:19], s[0:1], 0x10
	s_load_b64 s[10:11], s[0:1], 0x20
	v_lshlrev_b32_e32 v13, 3, v0
	v_cmp_ne_u32_e64 s0, 0, v0
	v_cmp_lt_u32_e64 s1, 1, v0
	v_cmp_lt_u32_e64 s2, 3, v0
	;; [unrolled: 1-line block ×3, first 2 shown]
	v_or_b32_e32 v14, 0x800, v13
	v_add_nc_u32_e32 v15, -8, v13
	v_add_nc_u32_e32 v16, 0x7f8, v13
	v_add_nc_u32_e32 v17, -16, v13
	v_add_nc_u32_e32 v18, 0x7f0, v13
	v_subrev_nc_u32_e32 v19, 32, v13
	v_add_nc_u32_e32 v20, 0x7e0, v13
	v_subrev_nc_u32_e32 v21, 64, v13
	v_add_nc_u32_e32 v22, 0x7c0, v13
	v_cmp_lt_u32_e64 s4, 15, v0
	v_add_nc_u32_e32 v23, 0xffffff80, v13
	v_add_nc_u32_e32 v24, 0x780, v13
	v_cmp_lt_u32_e64 s5, 31, v0
	s_waitcnt lgkmcnt(0)
	v_add_co_u32 v3, s9, v13, s18
	s_delay_alu instid0(VALU_DEP_1) | instskip(SKIP_1) | instid1(VALU_DEP_3)
	v_add_co_ci_u32_e64 v4, null, 0, s19, s9
	v_add_co_u32 v1, s9, s16, v13
	v_add_co_u32 v3, vcc_lo, v3, 4
	v_add_nc_u32_e32 v25, 0xffffff00, v13
	v_add_nc_u32_e32 v26, 0x700, v13
	v_cmp_lt_u32_e64 s6, 63, v0
	v_add_nc_u32_e32 v27, 0xfffffe00, v13
	v_add_nc_u32_e32 v28, 0x600, v13
	v_cmp_lt_u32_e64 s7, 0x7f, v0
	v_add_nc_u32_e32 v29, 0xfffffc00, v13
	v_add_nc_u32_e32 v30, 0x400, v13
	v_cmp_gt_u32_e64 s8, 0xff, v0
	v_add_co_ci_u32_e64 v2, null, s17, 0, s9
	v_add_co_ci_u32_e32 v4, vcc_lo, 0, v4, vcc_lo
	s_mov_b64 s[14:15], 0
	s_branch .LBB23_8
.LBB23_7:                               ;   in Loop: Header=BB23_8 Depth=1
	s_or_b32 exec_lo, exec_lo, s9
	s_add_u32 s14, s14, 0x100
	s_addc_u32 s15, s15, 0
	v_add_co_u32 v1, vcc_lo, 0x800, v1
	v_cmp_lt_i64_e64 s9, s[14:15], s[12:13]
	v_add_co_ci_u32_e32 v2, vcc_lo, 0, v2, vcc_lo
	v_add_co_u32 v3, vcc_lo, 0x800, v3
	v_add_co_ci_u32_e32 v4, vcc_lo, 0, v4, vcc_lo
	s_delay_alu instid0(VALU_DEP_4)
	s_and_b32 vcc_lo, exec_lo, s9
	s_waitcnt_vscnt null, 0x0
	s_barrier
	buffer_gl0_inv
	s_cbranch_vccz .LBB23_46
.LBB23_8:                               ; =>This Inner Loop Header: Depth=1
	v_add_co_u32 v5, s9, v0, s14
	v_dual_mov_b32 v9, -1 :: v_dual_mov_b32 v12, 0
	v_add_co_ci_u32_e64 v6, null, 0, s15, s9
	v_dual_mov_b32 v10, -1 :: v_dual_mov_b32 v11, 0
	s_mov_b32 s9, exec_lo
	s_delay_alu instid0(VALU_DEP_2)
	v_cmpx_gt_i64_e64 s[12:13], v[5:6]
	s_cbranch_execz .LBB23_10
; %bb.9:                                ;   in Loop: Header=BB23_8 Depth=1
	global_load_b64 v[9:10], v[1:2], off
	global_load_b64 v[11:12], v[3:4], off offset:-4
.LBB23_10:                              ;   in Loop: Header=BB23_8 Depth=1
	s_or_b32 exec_lo, exec_lo, s9
	v_dual_mov_b32 v6, 0 :: v_dual_mov_b32 v7, 0
	v_mov_b32_e32 v8, 0
	s_waitcnt vmcnt(1)
	ds_store_b64 v13, v[9:10]
	s_waitcnt vmcnt(0)
	ds_store_b64 v14, v[11:12]
	s_waitcnt lgkmcnt(0)
	s_barrier
	buffer_gl0_inv
	s_and_saveexec_b32 s9, s0
	s_cbranch_execz .LBB23_14
; %bb.11:                               ;   in Loop: Header=BB23_8 Depth=1
	ds_load_2addr_b64 v[7:10], v15 offset1:1
	s_waitcnt lgkmcnt(0)
	v_cmp_eq_u64_e32 vcc_lo, v[9:10], v[7:8]
	v_dual_mov_b32 v7, 0 :: v_dual_mov_b32 v8, 0
	s_and_saveexec_b32 s16, vcc_lo
	s_cbranch_execz .LBB23_13
; %bb.12:                               ;   in Loop: Header=BB23_8 Depth=1
	ds_load_b64 v[7:8], v16
.LBB23_13:                              ;   in Loop: Header=BB23_8 Depth=1
	s_or_b32 exec_lo, exec_lo, s16
.LBB23_14:                              ;   in Loop: Header=BB23_8 Depth=1
	s_delay_alu instid0(SALU_CYCLE_1)
	s_or_b32 exec_lo, exec_lo, s9
	s_waitcnt lgkmcnt(0)
	s_barrier
	buffer_gl0_inv
	ds_load_b64 v[9:10], v14
	v_mov_b32_e32 v5, 0
	s_waitcnt lgkmcnt(0)
	v_dual_add_f32 v7, v7, v9 :: v_dual_add_f32 v8, v8, v10
	ds_store_b64 v14, v[7:8]
	s_waitcnt lgkmcnt(0)
	s_barrier
	buffer_gl0_inv
	s_and_saveexec_b32 s9, s1
	s_cbranch_execz .LBB23_18
; %bb.15:                               ;   in Loop: Header=BB23_8 Depth=1
	ds_load_b64 v[5:6], v13
	ds_load_b64 v[7:8], v17
	s_waitcnt lgkmcnt(0)
	v_cmp_eq_u64_e32 vcc_lo, v[5:6], v[7:8]
	v_dual_mov_b32 v5, 0 :: v_dual_mov_b32 v6, 0
	s_and_saveexec_b32 s16, vcc_lo
	s_cbranch_execz .LBB23_17
; %bb.16:                               ;   in Loop: Header=BB23_8 Depth=1
	ds_load_b64 v[5:6], v18
.LBB23_17:                              ;   in Loop: Header=BB23_8 Depth=1
	s_or_b32 exec_lo, exec_lo, s16
.LBB23_18:                              ;   in Loop: Header=BB23_8 Depth=1
	s_delay_alu instid0(SALU_CYCLE_1)
	s_or_b32 exec_lo, exec_lo, s9
	s_waitcnt lgkmcnt(0)
	s_barrier
	buffer_gl0_inv
	ds_load_b64 v[7:8], v14
	s_waitcnt lgkmcnt(0)
	v_dual_add_f32 v9, v5, v7 :: v_dual_add_f32 v10, v6, v8
	v_dual_mov_b32 v6, 0 :: v_dual_mov_b32 v7, 0
	v_mov_b32_e32 v8, 0
	ds_store_b64 v14, v[9:10]
	s_waitcnt lgkmcnt(0)
	s_barrier
	buffer_gl0_inv
	s_and_saveexec_b32 s9, s2
	s_cbranch_execz .LBB23_22
; %bb.19:                               ;   in Loop: Header=BB23_8 Depth=1
	ds_load_b64 v[7:8], v13
	ds_load_b64 v[9:10], v19
	s_waitcnt lgkmcnt(0)
	v_cmp_eq_u64_e32 vcc_lo, v[7:8], v[9:10]
	v_dual_mov_b32 v7, 0 :: v_dual_mov_b32 v8, 0
	s_and_saveexec_b32 s16, vcc_lo
	s_cbranch_execz .LBB23_21
; %bb.20:                               ;   in Loop: Header=BB23_8 Depth=1
	ds_load_b64 v[7:8], v20
.LBB23_21:                              ;   in Loop: Header=BB23_8 Depth=1
	s_or_b32 exec_lo, exec_lo, s16
.LBB23_22:                              ;   in Loop: Header=BB23_8 Depth=1
	s_delay_alu instid0(SALU_CYCLE_1)
	s_or_b32 exec_lo, exec_lo, s9
	s_waitcnt lgkmcnt(0)
	s_barrier
	buffer_gl0_inv
	ds_load_b64 v[9:10], v14
	v_mov_b32_e32 v5, 0
	s_waitcnt lgkmcnt(0)
	v_dual_add_f32 v7, v7, v9 :: v_dual_add_f32 v8, v8, v10
	ds_store_b64 v14, v[7:8]
	s_waitcnt lgkmcnt(0)
	s_barrier
	buffer_gl0_inv
	s_and_saveexec_b32 s9, s3
	s_cbranch_execz .LBB23_26
; %bb.23:                               ;   in Loop: Header=BB23_8 Depth=1
	ds_load_b64 v[5:6], v13
	ds_load_b64 v[7:8], v21
	s_waitcnt lgkmcnt(0)
	v_cmp_eq_u64_e32 vcc_lo, v[5:6], v[7:8]
	v_dual_mov_b32 v5, 0 :: v_dual_mov_b32 v6, 0
	s_and_saveexec_b32 s16, vcc_lo
	s_cbranch_execz .LBB23_25
; %bb.24:                               ;   in Loop: Header=BB23_8 Depth=1
	ds_load_b64 v[5:6], v22
.LBB23_25:                              ;   in Loop: Header=BB23_8 Depth=1
	s_or_b32 exec_lo, exec_lo, s16
.LBB23_26:                              ;   in Loop: Header=BB23_8 Depth=1
	s_delay_alu instid0(SALU_CYCLE_1)
	s_or_b32 exec_lo, exec_lo, s9
	s_waitcnt lgkmcnt(0)
	s_barrier
	buffer_gl0_inv
	ds_load_b64 v[7:8], v14
	s_waitcnt lgkmcnt(0)
	v_dual_add_f32 v9, v5, v7 :: v_dual_add_f32 v10, v6, v8
	v_dual_mov_b32 v6, 0 :: v_dual_mov_b32 v7, 0
	v_mov_b32_e32 v8, 0
	ds_store_b64 v14, v[9:10]
	s_waitcnt lgkmcnt(0)
	s_barrier
	buffer_gl0_inv
	s_and_saveexec_b32 s9, s4
	s_cbranch_execz .LBB23_30
; %bb.27:                               ;   in Loop: Header=BB23_8 Depth=1
	ds_load_b64 v[7:8], v13
	ds_load_b64 v[9:10], v23
	s_waitcnt lgkmcnt(0)
	v_cmp_eq_u64_e32 vcc_lo, v[7:8], v[9:10]
	v_dual_mov_b32 v7, 0 :: v_dual_mov_b32 v8, 0
	s_and_saveexec_b32 s16, vcc_lo
	s_cbranch_execz .LBB23_29
; %bb.28:                               ;   in Loop: Header=BB23_8 Depth=1
	ds_load_b64 v[7:8], v24
.LBB23_29:                              ;   in Loop: Header=BB23_8 Depth=1
	s_or_b32 exec_lo, exec_lo, s16
.LBB23_30:                              ;   in Loop: Header=BB23_8 Depth=1
	;; [unrolled: 57-line block ×3, first 2 shown]
	s_delay_alu instid0(SALU_CYCLE_1)
	s_or_b32 exec_lo, exec_lo, s9
	s_waitcnt lgkmcnt(0)
	s_barrier
	buffer_gl0_inv
	ds_load_b64 v[9:10], v14
	v_mov_b32_e32 v5, 0
	s_waitcnt lgkmcnt(0)
	v_dual_add_f32 v7, v7, v9 :: v_dual_add_f32 v8, v8, v10
	ds_store_b64 v14, v[7:8]
	s_waitcnt lgkmcnt(0)
	s_barrier
	buffer_gl0_inv
	s_and_saveexec_b32 s9, s7
	s_cbranch_execz .LBB23_42
; %bb.39:                               ;   in Loop: Header=BB23_8 Depth=1
	ds_load_b64 v[5:6], v13
	ds_load_b64 v[7:8], v29
	s_waitcnt lgkmcnt(0)
	v_cmp_eq_u64_e32 vcc_lo, v[5:6], v[7:8]
	v_dual_mov_b32 v5, 0 :: v_dual_mov_b32 v6, 0
	s_and_saveexec_b32 s16, vcc_lo
	s_cbranch_execz .LBB23_41
; %bb.40:                               ;   in Loop: Header=BB23_8 Depth=1
	ds_load_b64 v[5:6], v30
.LBB23_41:                              ;   in Loop: Header=BB23_8 Depth=1
	s_or_b32 exec_lo, exec_lo, s16
.LBB23_42:                              ;   in Loop: Header=BB23_8 Depth=1
	s_delay_alu instid0(SALU_CYCLE_1)
	s_or_b32 exec_lo, exec_lo, s9
	s_waitcnt lgkmcnt(0)
	s_barrier
	buffer_gl0_inv
	ds_load_b64 v[7:8], v14
	s_waitcnt lgkmcnt(0)
	v_dual_add_f32 v5, v5, v7 :: v_dual_add_f32 v6, v6, v8
	v_mov_b32_e32 v7, -1
	v_mov_b32_e32 v8, -1
	ds_store_b64 v14, v[5:6]
	s_waitcnt lgkmcnt(0)
	s_barrier
	buffer_gl0_inv
	ds_load_b64 v[5:6], v13
	s_and_saveexec_b32 s9, s8
	s_cbranch_execz .LBB23_44
; %bb.43:                               ;   in Loop: Header=BB23_8 Depth=1
	ds_load_b64 v[7:8], v13 offset:8
.LBB23_44:                              ;   in Loop: Header=BB23_8 Depth=1
	s_or_b32 exec_lo, exec_lo, s9
	s_waitcnt lgkmcnt(0)
	v_cmp_ne_u64_e32 vcc_lo, v[5:6], v[7:8]
	v_cmp_lt_i64_e64 s9, -1, v[5:6]
	s_delay_alu instid0(VALU_DEP_1) | instskip(NEXT) | instid1(SALU_CYCLE_1)
	s_and_b32 s16, s9, vcc_lo
	s_and_saveexec_b32 s9, s16
	s_cbranch_execz .LBB23_7
; %bb.45:                               ;   in Loop: Header=BB23_8 Depth=1
	v_lshlrev_b64 v[5:6], 3, v[5:6]
	ds_load_b64 v[9:10], v14
	v_add_co_u32 v5, vcc_lo, s10, v5
	v_add_co_ci_u32_e32 v6, vcc_lo, s11, v6, vcc_lo
	global_load_b64 v[7:8], v[5:6], off
	s_waitcnt vmcnt(0) lgkmcnt(0)
	v_dual_add_f32 v7, v9, v7 :: v_dual_add_f32 v8, v10, v8
	global_store_b64 v[5:6], v[7:8], off
	s_branch .LBB23_7
.LBB23_46:
	s_endpgm
	.section	.rodata,"a",@progbits
	.p2align	6, 0x0
	.amdhsa_kernel _ZN9rocsparseL29coomvn_segmented_loops_reduceILj256El21rocsparse_complex_numIfES2_EEvT0_NS_24const_host_device_scalarIT2_EEPKS3_PKS5_PT1_b
		.amdhsa_group_segment_fixed_size 4096
		.amdhsa_private_segment_fixed_size 0
		.amdhsa_kernarg_size 44
		.amdhsa_user_sgpr_count 15
		.amdhsa_user_sgpr_dispatch_ptr 0
		.amdhsa_user_sgpr_queue_ptr 0
		.amdhsa_user_sgpr_kernarg_segment_ptr 1
		.amdhsa_user_sgpr_dispatch_id 0
		.amdhsa_user_sgpr_private_segment_size 0
		.amdhsa_wavefront_size32 1
		.amdhsa_uses_dynamic_stack 0
		.amdhsa_enable_private_segment 0
		.amdhsa_system_sgpr_workgroup_id_x 1
		.amdhsa_system_sgpr_workgroup_id_y 0
		.amdhsa_system_sgpr_workgroup_id_z 0
		.amdhsa_system_sgpr_workgroup_info 0
		.amdhsa_system_vgpr_workitem_id 0
		.amdhsa_next_free_vgpr 31
		.amdhsa_next_free_sgpr 20
		.amdhsa_reserve_vcc 1
		.amdhsa_float_round_mode_32 0
		.amdhsa_float_round_mode_16_64 0
		.amdhsa_float_denorm_mode_32 3
		.amdhsa_float_denorm_mode_16_64 3
		.amdhsa_dx10_clamp 1
		.amdhsa_ieee_mode 1
		.amdhsa_fp16_overflow 0
		.amdhsa_workgroup_processor_mode 1
		.amdhsa_memory_ordered 1
		.amdhsa_forward_progress 0
		.amdhsa_shared_vgpr_count 0
		.amdhsa_exception_fp_ieee_invalid_op 0
		.amdhsa_exception_fp_denorm_src 0
		.amdhsa_exception_fp_ieee_div_zero 0
		.amdhsa_exception_fp_ieee_overflow 0
		.amdhsa_exception_fp_ieee_underflow 0
		.amdhsa_exception_fp_ieee_inexact 0
		.amdhsa_exception_int_div_zero 0
	.end_amdhsa_kernel
	.section	.text._ZN9rocsparseL29coomvn_segmented_loops_reduceILj256El21rocsparse_complex_numIfES2_EEvT0_NS_24const_host_device_scalarIT2_EEPKS3_PKS5_PT1_b,"axG",@progbits,_ZN9rocsparseL29coomvn_segmented_loops_reduceILj256El21rocsparse_complex_numIfES2_EEvT0_NS_24const_host_device_scalarIT2_EEPKS3_PKS5_PT1_b,comdat
.Lfunc_end23:
	.size	_ZN9rocsparseL29coomvn_segmented_loops_reduceILj256El21rocsparse_complex_numIfES2_EEvT0_NS_24const_host_device_scalarIT2_EEPKS3_PKS5_PT1_b, .Lfunc_end23-_ZN9rocsparseL29coomvn_segmented_loops_reduceILj256El21rocsparse_complex_numIfES2_EEvT0_NS_24const_host_device_scalarIT2_EEPKS3_PKS5_PT1_b
                                        ; -- End function
	.section	.AMDGPU.csdata,"",@progbits
; Kernel info:
; codeLenInByte = 1848
; NumSgprs: 22
; NumVgprs: 31
; ScratchSize: 0
; MemoryBound: 0
; FloatMode: 240
; IeeeMode: 1
; LDSByteSize: 4096 bytes/workgroup (compile time only)
; SGPRBlocks: 2
; VGPRBlocks: 3
; NumSGPRsForWavesPerEU: 22
; NumVGPRsForWavesPerEU: 31
; Occupancy: 16
; WaveLimiterHint : 0
; COMPUTE_PGM_RSRC2:SCRATCH_EN: 0
; COMPUTE_PGM_RSRC2:USER_SGPR: 15
; COMPUTE_PGM_RSRC2:TRAP_HANDLER: 0
; COMPUTE_PGM_RSRC2:TGID_X_EN: 1
; COMPUTE_PGM_RSRC2:TGID_Y_EN: 0
; COMPUTE_PGM_RSRC2:TGID_Z_EN: 0
; COMPUTE_PGM_RSRC2:TIDIG_COMP_CNT: 0
	.section	.text._ZN9rocsparseL23coomvn_aos_atomic_loopsILj256ELj1Ei21rocsparse_complex_numIdES2_S2_S2_EEvlNS_24const_host_device_scalarIT5_EEPKT1_PKT2_PKT3_PT4_21rocsparse_index_base_b,"axG",@progbits,_ZN9rocsparseL23coomvn_aos_atomic_loopsILj256ELj1Ei21rocsparse_complex_numIdES2_S2_S2_EEvlNS_24const_host_device_scalarIT5_EEPKT1_PKT2_PKT3_PT4_21rocsparse_index_base_b,comdat
	.globl	_ZN9rocsparseL23coomvn_aos_atomic_loopsILj256ELj1Ei21rocsparse_complex_numIdES2_S2_S2_EEvlNS_24const_host_device_scalarIT5_EEPKT1_PKT2_PKT3_PT4_21rocsparse_index_base_b ; -- Begin function _ZN9rocsparseL23coomvn_aos_atomic_loopsILj256ELj1Ei21rocsparse_complex_numIdES2_S2_S2_EEvlNS_24const_host_device_scalarIT5_EEPKT1_PKT2_PKT3_PT4_21rocsparse_index_base_b
	.p2align	8
	.type	_ZN9rocsparseL23coomvn_aos_atomic_loopsILj256ELj1Ei21rocsparse_complex_numIdES2_S2_S2_EEvlNS_24const_host_device_scalarIT5_EEPKT1_PKT2_PKT3_PT4_21rocsparse_index_base_b,@function
_ZN9rocsparseL23coomvn_aos_atomic_loopsILj256ELj1Ei21rocsparse_complex_numIdES2_S2_S2_EEvlNS_24const_host_device_scalarIT5_EEPKT1_PKT2_PKT3_PT4_21rocsparse_index_base_b: ; @_ZN9rocsparseL23coomvn_aos_atomic_loopsILj256ELj1Ei21rocsparse_complex_numIdES2_S2_S2_EEvlNS_24const_host_device_scalarIT5_EEPKT1_PKT2_PKT3_PT4_21rocsparse_index_base_b
; %bb.0:
	s_load_b64 s[0:1], s[0:1], 0x4
	s_clause 0x1
	s_load_b128 s[4:7], s[2:3], 0x0
	s_load_b64 s[10:11], s[2:3], 0x10
	v_and_b32_e32 v17, 0x3ff, v0
	s_load_b64 s[8:9], s[2:3], 0x38
	v_bfe_u32 v2, v0, 10, 10
	v_bfe_u32 v0, v0, 20, 10
	s_waitcnt lgkmcnt(0)
	s_lshr_b32 s0, s0, 16
	s_delay_alu instid0(SALU_CYCLE_1)
	s_mul_i32 s0, s0, s1
	v_mov_b32_e32 v10, s10
	v_mul_lo_u32 v1, s0, v17
	s_and_b32 s9, 1, s9
	v_mov_b32_e32 v11, s11
	s_cmp_eq_u32 s9, 1
	s_cselect_b32 vcc_lo, -1, 0
	s_delay_alu instid0(VALU_DEP_2) | instskip(SKIP_3) | instid1(VALU_DEP_3)
	v_mad_u32_u24 v1, v2, s1, v1
	v_mov_b32_e32 v2, s6
	s_mov_b64 s[0:1], src_shared_base
	v_mov_b32_e32 v3, s7
	v_add_lshl_u32 v4, v1, v0, 3
	s_delay_alu instid0(VALU_DEP_1) | instskip(SKIP_4) | instid1(SALU_CYCLE_1)
	v_add_nc_u32_e32 v0, 0x1400, v4
	ds_store_b64 v4, v[2:3] offset:5120
	v_cndmask_b32_e32 v0, s6, v0, vcc_lo
	s_and_b32 vcc_lo, exec_lo, vcc_lo
	s_cselect_b32 s0, s1, s7
	v_mov_b32_e32 v1, s0
	flat_load_b64 v[8:9], v[0:1]
	s_cbranch_vccnz .LBB24_2
; %bb.1:
	v_dual_mov_b32 v0, s6 :: v_dual_mov_b32 v1, s7
	flat_load_b64 v[10:11], v[0:1] offset:8
.LBB24_2:
	s_waitcnt vmcnt(0) lgkmcnt(0)
	v_cmp_neq_f64_e32 vcc_lo, 0, v[8:9]
	v_cmp_neq_f64_e64 s0, 0, v[10:11]
	s_delay_alu instid0(VALU_DEP_1) | instskip(NEXT) | instid1(SALU_CYCLE_1)
	s_or_b32 s0, vcc_lo, s0
	s_and_saveexec_b32 s1, s0
	s_cbranch_execz .LBB24_48
; %bb.3:
	v_dual_mov_b32 v5, 0 :: v_dual_mov_b32 v0, 0
	v_dual_mov_b32 v1, 0 :: v_dual_mov_b32 v12, -1
	v_lshl_or_b32 v4, s15, 8, v17
	s_mov_b32 s0, exec_lo
	s_delay_alu instid0(VALU_DEP_2) | instskip(NEXT) | instid1(VALU_DEP_2)
	v_dual_mov_b32 v3, v1 :: v_dual_mov_b32 v2, v0
	v_cmpx_gt_i64_e64 s[4:5], v[4:5]
	s_cbranch_execz .LBB24_5
; %bb.4:
	s_clause 0x1
	s_load_b128 s[4:7], s[2:3], 0x18
	s_load_b64 s[10:11], s[2:3], 0x28
	v_lshlrev_b64 v[0:1], 3, v[4:5]
	v_lshlrev_b64 v[2:3], 4, v[4:5]
	s_waitcnt lgkmcnt(0)
	s_delay_alu instid0(VALU_DEP_2) | instskip(NEXT) | instid1(VALU_DEP_3)
	v_add_co_u32 v0, vcc_lo, s4, v0
	v_add_co_ci_u32_e32 v1, vcc_lo, s5, v1, vcc_lo
	s_delay_alu instid0(VALU_DEP_3) | instskip(NEXT) | instid1(VALU_DEP_4)
	v_add_co_u32 v2, vcc_lo, s6, v2
	v_add_co_ci_u32_e32 v3, vcc_lo, s7, v3, vcc_lo
	global_load_b64 v[12:13], v[0:1], off slc dlc
	s_waitcnt vmcnt(0)
	v_subrev_nc_u32_e32 v0, s8, v13
	v_subrev_nc_u32_e32 v12, s8, v12
	s_delay_alu instid0(VALU_DEP_2) | instskip(NEXT) | instid1(VALU_DEP_1)
	v_ashrrev_i32_e32 v1, 31, v0
	v_lshlrev_b64 v[0:1], 4, v[0:1]
	s_delay_alu instid0(VALU_DEP_1) | instskip(NEXT) | instid1(VALU_DEP_2)
	v_add_co_u32 v4, vcc_lo, s10, v0
	v_add_co_ci_u32_e32 v5, vcc_lo, s11, v1, vcc_lo
	global_load_b128 v[0:3], v[2:3], off slc dlc
	global_load_b128 v[4:7], v[4:5], off
	s_waitcnt vmcnt(0)
	v_mul_f64 v[13:14], v[6:7], -v[2:3]
	v_mul_f64 v[6:7], v[0:1], v[6:7]
	s_delay_alu instid0(VALU_DEP_2) | instskip(NEXT) | instid1(VALU_DEP_2)
	v_fma_f64 v[0:1], v[0:1], v[4:5], v[13:14]
	v_fma_f64 v[2:3], v[2:3], v[4:5], v[6:7]
.LBB24_5:
	s_or_b32 exec_lo, exec_lo, s0
	v_lshlrev_b32_e32 v6, 2, v17
	v_lshlrev_b32_e32 v4, 4, v17
	s_mov_b32 s0, exec_lo
	ds_store_b32 v6, v12 offset:4096
	ds_store_b128 v4, v[0:3]
	v_or_b32_e32 v5, 0x1000, v6
	s_waitcnt lgkmcnt(0)
	s_barrier
	buffer_gl0_inv
	v_cmpx_ne_u32_e32 0, v17
	s_cbranch_execz .LBB24_9
; %bb.6:
	v_add_nc_u32_e32 v6, -4, v5
	s_mov_b32 s1, exec_lo
	ds_load_b32 v6, v6
	s_waitcnt lgkmcnt(0)
	v_cmpx_eq_u32_e64 v12, v6
	s_cbranch_execz .LBB24_8
; %bb.7:
	v_add_nc_u32_e32 v6, -16, v4
	ds_load_b128 v[13:16], v6
	s_waitcnt lgkmcnt(0)
	v_add_f64 v[0:1], v[0:1], v[13:14]
	v_add_f64 v[2:3], v[2:3], v[15:16]
.LBB24_8:
	s_or_b32 exec_lo, exec_lo, s1
.LBB24_9:
	s_delay_alu instid0(SALU_CYCLE_1) | instskip(NEXT) | instid1(SALU_CYCLE_1)
	s_or_b32 exec_lo, exec_lo, s0
	s_mov_b32 s0, exec_lo
	s_barrier
	buffer_gl0_inv
	ds_store_b128 v4, v[0:3]
	s_waitcnt lgkmcnt(0)
	s_barrier
	buffer_gl0_inv
	v_cmpx_lt_u32_e32 1, v17
	s_cbranch_execz .LBB24_13
; %bb.10:
	v_add_nc_u32_e32 v6, -8, v5
	s_mov_b32 s1, exec_lo
	ds_load_b32 v6, v6
	s_waitcnt lgkmcnt(0)
	v_cmpx_eq_u32_e64 v12, v6
	s_cbranch_execz .LBB24_12
; %bb.11:
	v_subrev_nc_u32_e32 v6, 32, v4
	ds_load_b128 v[13:16], v6
	s_waitcnt lgkmcnt(0)
	v_add_f64 v[0:1], v[0:1], v[13:14]
	v_add_f64 v[2:3], v[2:3], v[15:16]
.LBB24_12:
	s_or_b32 exec_lo, exec_lo, s1
.LBB24_13:
	s_delay_alu instid0(SALU_CYCLE_1) | instskip(NEXT) | instid1(SALU_CYCLE_1)
	s_or_b32 exec_lo, exec_lo, s0
	s_mov_b32 s0, exec_lo
	s_barrier
	buffer_gl0_inv
	ds_store_b128 v4, v[0:3]
	s_waitcnt lgkmcnt(0)
	s_barrier
	buffer_gl0_inv
	v_cmpx_lt_u32_e32 3, v17
	s_cbranch_execz .LBB24_17
; %bb.14:
	v_add_nc_u32_e32 v6, -16, v5
	s_mov_b32 s1, exec_lo
	ds_load_b32 v6, v6
	s_waitcnt lgkmcnt(0)
	v_cmpx_eq_u32_e64 v12, v6
	s_cbranch_execz .LBB24_16
; %bb.15:
	v_subrev_nc_u32_e32 v6, 64, v4
	ds_load_b128 v[13:16], v6
	s_waitcnt lgkmcnt(0)
	v_add_f64 v[0:1], v[0:1], v[13:14]
	v_add_f64 v[2:3], v[2:3], v[15:16]
.LBB24_16:
	s_or_b32 exec_lo, exec_lo, s1
.LBB24_17:
	s_delay_alu instid0(SALU_CYCLE_1) | instskip(NEXT) | instid1(SALU_CYCLE_1)
	s_or_b32 exec_lo, exec_lo, s0
	s_mov_b32 s0, exec_lo
	s_barrier
	buffer_gl0_inv
	ds_store_b128 v4, v[0:3]
	s_waitcnt lgkmcnt(0)
	s_barrier
	buffer_gl0_inv
	v_cmpx_lt_u32_e32 7, v17
	s_cbranch_execz .LBB24_21
; %bb.18:
	v_subrev_nc_u32_e32 v6, 32, v5
	s_mov_b32 s1, exec_lo
	ds_load_b32 v6, v6
	s_waitcnt lgkmcnt(0)
	v_cmpx_eq_u32_e64 v12, v6
	s_cbranch_execz .LBB24_20
; %bb.19:
	v_add_nc_u32_e32 v6, 0xffffff80, v4
	ds_load_b128 v[13:16], v6
	s_waitcnt lgkmcnt(0)
	v_add_f64 v[0:1], v[0:1], v[13:14]
	v_add_f64 v[2:3], v[2:3], v[15:16]
.LBB24_20:
	s_or_b32 exec_lo, exec_lo, s1
.LBB24_21:
	s_delay_alu instid0(SALU_CYCLE_1) | instskip(NEXT) | instid1(SALU_CYCLE_1)
	s_or_b32 exec_lo, exec_lo, s0
	s_mov_b32 s0, exec_lo
	s_barrier
	buffer_gl0_inv
	ds_store_b128 v4, v[0:3]
	s_waitcnt lgkmcnt(0)
	s_barrier
	buffer_gl0_inv
	v_cmpx_lt_u32_e32 15, v17
	s_cbranch_execz .LBB24_25
; %bb.22:
	v_subrev_nc_u32_e32 v6, 64, v5
	s_mov_b32 s1, exec_lo
	ds_load_b32 v6, v6
	s_waitcnt lgkmcnt(0)
	v_cmpx_eq_u32_e64 v12, v6
	s_cbranch_execz .LBB24_24
; %bb.23:
	v_add_nc_u32_e32 v6, 0xffffff00, v4
	ds_load_b128 v[13:16], v6
	s_waitcnt lgkmcnt(0)
	v_add_f64 v[0:1], v[0:1], v[13:14]
	v_add_f64 v[2:3], v[2:3], v[15:16]
.LBB24_24:
	s_or_b32 exec_lo, exec_lo, s1
.LBB24_25:
	s_delay_alu instid0(SALU_CYCLE_1) | instskip(NEXT) | instid1(SALU_CYCLE_1)
	s_or_b32 exec_lo, exec_lo, s0
	s_mov_b32 s0, exec_lo
	s_barrier
	buffer_gl0_inv
	ds_store_b128 v4, v[0:3]
	s_waitcnt lgkmcnt(0)
	s_barrier
	buffer_gl0_inv
	v_cmpx_lt_u32_e32 31, v17
	s_cbranch_execz .LBB24_29
; %bb.26:
	v_add_nc_u32_e32 v6, 0xffffff80, v5
	s_mov_b32 s1, exec_lo
	ds_load_b32 v6, v6
	s_waitcnt lgkmcnt(0)
	v_cmpx_eq_u32_e64 v12, v6
	s_cbranch_execz .LBB24_28
; %bb.27:
	v_add_nc_u32_e32 v6, 0xfffffe00, v4
	ds_load_b128 v[13:16], v6
	s_waitcnt lgkmcnt(0)
	v_add_f64 v[0:1], v[0:1], v[13:14]
	v_add_f64 v[2:3], v[2:3], v[15:16]
.LBB24_28:
	s_or_b32 exec_lo, exec_lo, s1
.LBB24_29:
	s_delay_alu instid0(SALU_CYCLE_1) | instskip(NEXT) | instid1(SALU_CYCLE_1)
	s_or_b32 exec_lo, exec_lo, s0
	s_mov_b32 s0, exec_lo
	s_barrier
	buffer_gl0_inv
	ds_store_b128 v4, v[0:3]
	s_waitcnt lgkmcnt(0)
	s_barrier
	buffer_gl0_inv
	v_cmpx_lt_u32_e32 63, v17
	s_cbranch_execz .LBB24_33
; %bb.30:
	v_add_nc_u32_e32 v6, 0xffffff00, v5
	s_mov_b32 s1, exec_lo
	ds_load_b32 v6, v6
	s_waitcnt lgkmcnt(0)
	v_cmpx_eq_u32_e64 v12, v6
	s_cbranch_execz .LBB24_32
; %bb.31:
	v_add_nc_u32_e32 v6, 0xfffffc00, v4
	ds_load_b128 v[13:16], v6
	s_waitcnt lgkmcnt(0)
	v_add_f64 v[0:1], v[0:1], v[13:14]
	v_add_f64 v[2:3], v[2:3], v[15:16]
.LBB24_32:
	s_or_b32 exec_lo, exec_lo, s1
.LBB24_33:
	s_delay_alu instid0(SALU_CYCLE_1)
	s_or_b32 exec_lo, exec_lo, s0
	s_load_b64 s[2:3], s[2:3], 0x30
	s_mov_b32 s0, exec_lo
	s_waitcnt lgkmcnt(0)
	s_barrier
	buffer_gl0_inv
	ds_store_b128 v4, v[0:3]
	s_waitcnt lgkmcnt(0)
	s_barrier
	buffer_gl0_inv
	v_cmpx_lt_u32_e32 0x7f, v17
	s_cbranch_execz .LBB24_37
; %bb.34:
	v_add_nc_u32_e32 v6, 0xfffffe00, v5
	s_mov_b32 s1, exec_lo
	ds_load_b32 v6, v6
	s_waitcnt lgkmcnt(0)
	v_cmpx_eq_u32_e64 v12, v6
	s_cbranch_execz .LBB24_36
; %bb.35:
	v_add_nc_u32_e32 v6, 0xfffff800, v4
	ds_load_b128 v[13:16], v6
	s_waitcnt lgkmcnt(0)
	v_add_f64 v[0:1], v[0:1], v[13:14]
	v_add_f64 v[2:3], v[2:3], v[15:16]
.LBB24_36:
	s_or_b32 exec_lo, exec_lo, s1
.LBB24_37:
	s_delay_alu instid0(SALU_CYCLE_1) | instskip(NEXT) | instid1(SALU_CYCLE_1)
	s_or_b32 exec_lo, exec_lo, s0
	s_mov_b32 s1, exec_lo
	s_barrier
	buffer_gl0_inv
	ds_store_b128 v4, v[0:3]
	s_waitcnt lgkmcnt(0)
	s_barrier
	buffer_gl0_inv
	v_cmpx_gt_u32_e32 0xff, v17
	s_cbranch_execz .LBB24_43
; %bb.38:
	ds_load_b32 v4, v5 offset:4
	v_cmp_lt_i32_e64 s0, -1, v12
	s_waitcnt lgkmcnt(0)
	v_cmp_ne_u32_e32 vcc_lo, v12, v4
	s_delay_alu instid0(VALU_DEP_2) | instskip(NEXT) | instid1(SALU_CYCLE_1)
	s_and_b32 s0, s0, vcc_lo
	s_and_b32 exec_lo, exec_lo, s0
	s_cbranch_execz .LBB24_43
; %bb.39:
	v_mov_b32_e32 v13, 0
	s_mov_b32 s0, 0
	s_delay_alu instid0(VALU_DEP_1) | instskip(NEXT) | instid1(VALU_DEP_1)
	v_lshlrev_b64 v[4:5], 4, v[12:13]
	v_add_co_u32 v13, vcc_lo, s2, v4
	s_delay_alu instid0(VALU_DEP_2)
	v_add_co_ci_u32_e32 v14, vcc_lo, s3, v5, vcc_lo
	v_mul_f64 v[4:5], v[2:3], -v[10:11]
	global_load_b64 v[6:7], v[13:14], off
	v_fma_f64 v[15:16], v[8:9], v[0:1], v[4:5]
.LBB24_40:                              ; =>This Inner Loop Header: Depth=1
	s_waitcnt vmcnt(0)
	s_delay_alu instid0(VALU_DEP_1)
	v_add_f64 v[4:5], v[6:7], v[15:16]
	global_atomic_cmpswap_b64 v[4:5], v[13:14], v[4:7], off glc
	s_waitcnt vmcnt(0)
	v_cmp_eq_u64_e32 vcc_lo, v[4:5], v[6:7]
	v_dual_mov_b32 v7, v5 :: v_dual_mov_b32 v6, v4
	s_or_b32 s0, vcc_lo, s0
	s_delay_alu instid0(SALU_CYCLE_1)
	s_and_not1_b32 exec_lo, exec_lo, s0
	s_cbranch_execnz .LBB24_40
; %bb.41:
	s_or_b32 exec_lo, exec_lo, s0
	global_load_b64 v[6:7], v[13:14], off offset:8
	v_mul_f64 v[4:5], v[8:9], v[2:3]
	s_mov_b32 s0, 0
	s_delay_alu instid0(VALU_DEP_1)
	v_fma_f64 v[15:16], v[10:11], v[0:1], v[4:5]
.LBB24_42:                              ; =>This Inner Loop Header: Depth=1
	s_waitcnt vmcnt(0)
	s_delay_alu instid0(VALU_DEP_1)
	v_add_f64 v[4:5], v[6:7], v[15:16]
	global_atomic_cmpswap_b64 v[4:5], v[13:14], v[4:7], off offset:8 glc
	s_waitcnt vmcnt(0)
	v_cmp_eq_u64_e32 vcc_lo, v[4:5], v[6:7]
	v_dual_mov_b32 v7, v5 :: v_dual_mov_b32 v6, v4
	s_or_b32 s0, vcc_lo, s0
	s_delay_alu instid0(SALU_CYCLE_1)
	s_and_not1_b32 exec_lo, exec_lo, s0
	s_cbranch_execnz .LBB24_42
.LBB24_43:
	s_or_b32 exec_lo, exec_lo, s1
	v_cmp_eq_u32_e32 vcc_lo, 0xff, v17
	v_cmp_lt_i32_e64 s0, -1, v12
	s_delay_alu instid0(VALU_DEP_1) | instskip(NEXT) | instid1(SALU_CYCLE_1)
	s_and_b32 s0, vcc_lo, s0
	s_and_b32 exec_lo, exec_lo, s0
	s_cbranch_execz .LBB24_48
; %bb.44:
	v_mov_b32_e32 v13, 0
	s_mov_b32 s0, 0
	s_delay_alu instid0(VALU_DEP_1) | instskip(NEXT) | instid1(VALU_DEP_1)
	v_lshlrev_b64 v[4:5], 4, v[12:13]
	v_add_co_u32 v12, vcc_lo, s2, v4
	s_delay_alu instid0(VALU_DEP_2)
	v_add_co_ci_u32_e32 v13, vcc_lo, s3, v5, vcc_lo
	v_mul_f64 v[4:5], v[2:3], -v[10:11]
	global_load_b64 v[6:7], v[12:13], off
	v_fma_f64 v[14:15], v[8:9], v[0:1], v[4:5]
.LBB24_45:                              ; =>This Inner Loop Header: Depth=1
	s_waitcnt vmcnt(0)
	s_delay_alu instid0(VALU_DEP_1)
	v_add_f64 v[4:5], v[6:7], v[14:15]
	global_atomic_cmpswap_b64 v[4:5], v[12:13], v[4:7], off glc
	s_waitcnt vmcnt(0)
	v_cmp_eq_u64_e32 vcc_lo, v[4:5], v[6:7]
	v_dual_mov_b32 v7, v5 :: v_dual_mov_b32 v6, v4
	s_or_b32 s0, vcc_lo, s0
	s_delay_alu instid0(SALU_CYCLE_1)
	s_and_not1_b32 exec_lo, exec_lo, s0
	s_cbranch_execnz .LBB24_45
; %bb.46:
	s_or_b32 exec_lo, exec_lo, s0
	global_load_b64 v[4:5], v[12:13], off offset:8
	v_mul_f64 v[2:3], v[8:9], v[2:3]
	s_mov_b32 s0, 0
	s_delay_alu instid0(VALU_DEP_1)
	v_fma_f64 v[0:1], v[10:11], v[0:1], v[2:3]
.LBB24_47:                              ; =>This Inner Loop Header: Depth=1
	s_waitcnt vmcnt(0)
	s_delay_alu instid0(VALU_DEP_1)
	v_add_f64 v[2:3], v[4:5], v[0:1]
	global_atomic_cmpswap_b64 v[2:3], v[12:13], v[2:5], off offset:8 glc
	s_waitcnt vmcnt(0)
	v_cmp_eq_u64_e32 vcc_lo, v[2:3], v[4:5]
	v_dual_mov_b32 v5, v3 :: v_dual_mov_b32 v4, v2
	s_or_b32 s0, vcc_lo, s0
	s_delay_alu instid0(SALU_CYCLE_1)
	s_and_not1_b32 exec_lo, exec_lo, s0
	s_cbranch_execnz .LBB24_47
.LBB24_48:
	s_endpgm
	.section	.rodata,"a",@progbits
	.p2align	6, 0x0
	.amdhsa_kernel _ZN9rocsparseL23coomvn_aos_atomic_loopsILj256ELj1Ei21rocsparse_complex_numIdES2_S2_S2_EEvlNS_24const_host_device_scalarIT5_EEPKT1_PKT2_PKT3_PT4_21rocsparse_index_base_b
		.amdhsa_group_segment_fixed_size 7168
		.amdhsa_private_segment_fixed_size 0
		.amdhsa_kernarg_size 64
		.amdhsa_user_sgpr_count 15
		.amdhsa_user_sgpr_dispatch_ptr 1
		.amdhsa_user_sgpr_queue_ptr 0
		.amdhsa_user_sgpr_kernarg_segment_ptr 1
		.amdhsa_user_sgpr_dispatch_id 0
		.amdhsa_user_sgpr_private_segment_size 0
		.amdhsa_wavefront_size32 1
		.amdhsa_uses_dynamic_stack 0
		.amdhsa_enable_private_segment 0
		.amdhsa_system_sgpr_workgroup_id_x 1
		.amdhsa_system_sgpr_workgroup_id_y 0
		.amdhsa_system_sgpr_workgroup_id_z 0
		.amdhsa_system_sgpr_workgroup_info 0
		.amdhsa_system_vgpr_workitem_id 2
		.amdhsa_next_free_vgpr 18
		.amdhsa_next_free_sgpr 16
		.amdhsa_reserve_vcc 1
		.amdhsa_float_round_mode_32 0
		.amdhsa_float_round_mode_16_64 0
		.amdhsa_float_denorm_mode_32 3
		.amdhsa_float_denorm_mode_16_64 3
		.amdhsa_dx10_clamp 1
		.amdhsa_ieee_mode 1
		.amdhsa_fp16_overflow 0
		.amdhsa_workgroup_processor_mode 1
		.amdhsa_memory_ordered 1
		.amdhsa_forward_progress 0
		.amdhsa_shared_vgpr_count 0
		.amdhsa_exception_fp_ieee_invalid_op 0
		.amdhsa_exception_fp_denorm_src 0
		.amdhsa_exception_fp_ieee_div_zero 0
		.amdhsa_exception_fp_ieee_overflow 0
		.amdhsa_exception_fp_ieee_underflow 0
		.amdhsa_exception_fp_ieee_inexact 0
		.amdhsa_exception_int_div_zero 0
	.end_amdhsa_kernel
	.section	.text._ZN9rocsparseL23coomvn_aos_atomic_loopsILj256ELj1Ei21rocsparse_complex_numIdES2_S2_S2_EEvlNS_24const_host_device_scalarIT5_EEPKT1_PKT2_PKT3_PT4_21rocsparse_index_base_b,"axG",@progbits,_ZN9rocsparseL23coomvn_aos_atomic_loopsILj256ELj1Ei21rocsparse_complex_numIdES2_S2_S2_EEvlNS_24const_host_device_scalarIT5_EEPKT1_PKT2_PKT3_PT4_21rocsparse_index_base_b,comdat
.Lfunc_end24:
	.size	_ZN9rocsparseL23coomvn_aos_atomic_loopsILj256ELj1Ei21rocsparse_complex_numIdES2_S2_S2_EEvlNS_24const_host_device_scalarIT5_EEPKT1_PKT2_PKT3_PT4_21rocsparse_index_base_b, .Lfunc_end24-_ZN9rocsparseL23coomvn_aos_atomic_loopsILj256ELj1Ei21rocsparse_complex_numIdES2_S2_S2_EEvlNS_24const_host_device_scalarIT5_EEPKT1_PKT2_PKT3_PT4_21rocsparse_index_base_b
                                        ; -- End function
	.section	.AMDGPU.csdata,"",@progbits
; Kernel info:
; codeLenInByte = 2068
; NumSgprs: 18
; NumVgprs: 18
; ScratchSize: 0
; MemoryBound: 0
; FloatMode: 240
; IeeeMode: 1
; LDSByteSize: 7168 bytes/workgroup (compile time only)
; SGPRBlocks: 2
; VGPRBlocks: 2
; NumSGPRsForWavesPerEU: 18
; NumVGPRsForWavesPerEU: 18
; Occupancy: 16
; WaveLimiterHint : 1
; COMPUTE_PGM_RSRC2:SCRATCH_EN: 0
; COMPUTE_PGM_RSRC2:USER_SGPR: 15
; COMPUTE_PGM_RSRC2:TRAP_HANDLER: 0
; COMPUTE_PGM_RSRC2:TGID_X_EN: 1
; COMPUTE_PGM_RSRC2:TGID_Y_EN: 0
; COMPUTE_PGM_RSRC2:TGID_Z_EN: 0
; COMPUTE_PGM_RSRC2:TIDIG_COMP_CNT: 2
	.section	.text._ZN9rocsparseL17coomvt_aos_kernelILj1024Ei21rocsparse_complex_numIdES2_S2_S2_EEv20rocsparse_operation_lNS_24const_host_device_scalarIT4_EEPKT0_PKT1_PKT2_PT3_21rocsparse_index_base_b,"axG",@progbits,_ZN9rocsparseL17coomvt_aos_kernelILj1024Ei21rocsparse_complex_numIdES2_S2_S2_EEv20rocsparse_operation_lNS_24const_host_device_scalarIT4_EEPKT0_PKT1_PKT2_PT3_21rocsparse_index_base_b,comdat
	.globl	_ZN9rocsparseL17coomvt_aos_kernelILj1024Ei21rocsparse_complex_numIdES2_S2_S2_EEv20rocsparse_operation_lNS_24const_host_device_scalarIT4_EEPKT0_PKT1_PKT2_PT3_21rocsparse_index_base_b ; -- Begin function _ZN9rocsparseL17coomvt_aos_kernelILj1024Ei21rocsparse_complex_numIdES2_S2_S2_EEv20rocsparse_operation_lNS_24const_host_device_scalarIT4_EEPKT0_PKT1_PKT2_PT3_21rocsparse_index_base_b
	.p2align	8
	.type	_ZN9rocsparseL17coomvt_aos_kernelILj1024Ei21rocsparse_complex_numIdES2_S2_S2_EEv20rocsparse_operation_lNS_24const_host_device_scalarIT4_EEPKT0_PKT1_PKT2_PT3_21rocsparse_index_base_b,@function
_ZN9rocsparseL17coomvt_aos_kernelILj1024Ei21rocsparse_complex_numIdES2_S2_S2_EEv20rocsparse_operation_lNS_24const_host_device_scalarIT4_EEPKT0_PKT1_PKT2_PT3_21rocsparse_index_base_b: ; @_ZN9rocsparseL17coomvt_aos_kernelILj1024Ei21rocsparse_complex_numIdES2_S2_S2_EEv20rocsparse_operation_lNS_24const_host_device_scalarIT4_EEPKT0_PKT1_PKT2_PT3_21rocsparse_index_base_b
; %bb.0:
	s_load_b64 s[0:1], s[0:1], 0x4
	s_clause 0x1
	s_load_b64 s[12:13], s[2:3], 0x40
	s_load_b128 s[4:7], s[2:3], 0x8
	v_bfe_u32 v3, v0, 10, 10
	s_waitcnt lgkmcnt(0)
	s_lshr_b32 s0, s0, 16
	s_and_b32 s8, 1, s13
	s_mul_i32 s0, s0, s1
	s_cmp_eq_u32 s8, 1
	s_load_b64 s[8:9], s[2:3], 0x18
	v_dual_mov_b32 v4, s6 :: v_dual_and_b32 v1, 0x3ff, v0
	v_bfe_u32 v0, v0, 20, 10
	s_cselect_b32 vcc_lo, -1, 0
	v_mov_b32_e32 v5, s7
	s_delay_alu instid0(VALU_DEP_3) | instskip(NEXT) | instid1(VALU_DEP_1)
	v_mul_lo_u32 v2, s0, v1
	v_mad_u32_u24 v2, v3, s1, v2
	s_mov_b64 s[0:1], src_shared_base
	s_delay_alu instid0(VALU_DEP_1) | instskip(SKIP_2) | instid1(VALU_DEP_2)
	v_add_lshl_u32 v0, v2, v0, 3
	s_waitcnt lgkmcnt(0)
	v_dual_mov_b32 v8, s8 :: v_dual_mov_b32 v9, s9
	v_cndmask_b32_e32 v2, s6, v0, vcc_lo
	s_and_b32 vcc_lo, vcc_lo, exec_lo
	s_cselect_b32 s0, s1, s7
	ds_store_b64 v0, v[4:5]
	v_mov_b32_e32 v3, s0
	flat_load_b64 v[4:5], v[2:3]
	s_cbranch_vccnz .LBB25_2
; %bb.1:
	v_dual_mov_b32 v2, s6 :: v_dual_mov_b32 v3, s7
	flat_load_b64 v[8:9], v[2:3] offset:8
.LBB25_2:
	s_waitcnt vmcnt(0) lgkmcnt(0)
	v_cmp_neq_f64_e32 vcc_lo, 0, v[4:5]
	v_cmp_neq_f64_e64 s0, 0, v[8:9]
	s_delay_alu instid0(VALU_DEP_1) | instskip(NEXT) | instid1(SALU_CYCLE_1)
	s_or_b32 s0, vcc_lo, s0
	s_and_saveexec_b32 s1, s0
	s_cbranch_execz .LBB25_8
; %bb.3:
	s_load_b32 s0, s[2:3], 0x54
	s_waitcnt lgkmcnt(0)
	s_and_b32 s0, s0, 0xffff
	s_delay_alu instid0(SALU_CYCLE_1) | instskip(SKIP_1) | instid1(VALU_DEP_1)
	v_mad_u64_u32 v[2:3], null, s15, s0, v[1:2]
	v_mov_b32_e32 v3, 0
	v_cmp_gt_i64_e32 vcc_lo, s[4:5], v[2:3]
	s_and_b32 exec_lo, exec_lo, vcc_lo
	s_cbranch_execz .LBB25_8
; %bb.4:
	s_load_b256 s[4:11], s[2:3], 0x20
	v_lshlrev_b64 v[0:1], 3, v[2:3]
	s_load_b32 s0, s[2:3], 0x0
	s_waitcnt lgkmcnt(0)
	s_delay_alu instid0(VALU_DEP_1) | instskip(NEXT) | instid1(VALU_DEP_2)
	v_add_co_u32 v0, vcc_lo, s4, v0
	v_add_co_ci_u32_e32 v1, vcc_lo, s5, v1, vcc_lo
	s_cmpk_eq_i32 s0, 0x71
	s_mov_b32 s0, 0
	global_load_b64 v[6:7], v[0:1], off
	v_lshlrev_b64 v[0:1], 4, v[2:3]
	s_delay_alu instid0(VALU_DEP_1) | instskip(NEXT) | instid1(VALU_DEP_2)
	v_add_co_u32 v0, vcc_lo, s6, v0
	v_add_co_ci_u32_e32 v1, vcc_lo, s7, v1, vcc_lo
	global_load_b128 v[12:15], v[0:1], off
	s_waitcnt vmcnt(1)
	v_subrev_nc_u32_e32 v0, s12, v6
	v_subrev_nc_u32_e32 v6, s12, v7
	s_delay_alu instid0(VALU_DEP_2) | instskip(NEXT) | instid1(VALU_DEP_2)
	v_ashrrev_i32_e32 v1, 31, v0
	v_ashrrev_i32_e32 v7, 31, v6
	s_delay_alu instid0(VALU_DEP_2) | instskip(NEXT) | instid1(VALU_DEP_2)
	v_lshlrev_b64 v[0:1], 4, v[0:1]
	v_lshlrev_b64 v[6:7], 4, v[6:7]
	s_waitcnt vmcnt(0)
	v_xor_b32_e32 v16, 0x80000000, v15
	s_delay_alu instid0(VALU_DEP_3) | instskip(NEXT) | instid1(VALU_DEP_4)
	v_add_co_u32 v0, vcc_lo, s8, v0
	v_add_co_ci_u32_e32 v1, vcc_lo, s9, v1, vcc_lo
	s_delay_alu instid0(VALU_DEP_4)
	v_add_co_u32 v10, vcc_lo, s10, v6
	v_add_co_ci_u32_e32 v11, vcc_lo, s11, v7, vcc_lo
	global_load_b128 v[0:3], v[0:1], off
	s_cselect_b32 vcc_lo, -1, 0
	global_load_b64 v[6:7], v[10:11], off
	v_cndmask_b32_e32 v15, v15, v16, vcc_lo
	s_delay_alu instid0(VALU_DEP_1) | instskip(SKIP_1) | instid1(VALU_DEP_2)
	v_mul_f64 v[16:17], v[4:5], v[14:15]
	v_mul_f64 v[14:15], v[14:15], -v[8:9]
	v_fma_f64 v[8:9], v[8:9], v[12:13], v[16:17]
	s_delay_alu instid0(VALU_DEP_2) | instskip(SKIP_1) | instid1(VALU_DEP_2)
	v_fma_f64 v[12:13], v[4:5], v[12:13], v[14:15]
	s_waitcnt vmcnt(1)
	v_mul_f64 v[4:5], v[2:3], -v[8:9]
	s_delay_alu instid0(VALU_DEP_1)
	v_fma_f64 v[14:15], v[12:13], v[0:1], v[4:5]
.LBB25_5:                               ; =>This Inner Loop Header: Depth=1
	s_waitcnt vmcnt(0)
	s_delay_alu instid0(VALU_DEP_1)
	v_add_f64 v[4:5], v[6:7], v[14:15]
	global_atomic_cmpswap_b64 v[4:5], v[10:11], v[4:7], off glc
	s_waitcnt vmcnt(0)
	v_cmp_eq_u64_e32 vcc_lo, v[4:5], v[6:7]
	v_dual_mov_b32 v7, v5 :: v_dual_mov_b32 v6, v4
	s_or_b32 s0, vcc_lo, s0
	s_delay_alu instid0(SALU_CYCLE_1)
	s_and_not1_b32 exec_lo, exec_lo, s0
	s_cbranch_execnz .LBB25_5
; %bb.6:
	s_or_b32 exec_lo, exec_lo, s0
	global_load_b64 v[4:5], v[10:11], off offset:8
	v_mul_f64 v[2:3], v[12:13], v[2:3]
	s_mov_b32 s0, 0
	s_delay_alu instid0(VALU_DEP_1)
	v_fma_f64 v[0:1], v[8:9], v[0:1], v[2:3]
.LBB25_7:                               ; =>This Inner Loop Header: Depth=1
	s_waitcnt vmcnt(0)
	s_delay_alu instid0(VALU_DEP_1)
	v_add_f64 v[2:3], v[4:5], v[0:1]
	global_atomic_cmpswap_b64 v[2:3], v[10:11], v[2:5], off offset:8 glc
	s_waitcnt vmcnt(0)
	v_cmp_eq_u64_e32 vcc_lo, v[2:3], v[4:5]
	v_dual_mov_b32 v5, v3 :: v_dual_mov_b32 v4, v2
	s_or_b32 s0, vcc_lo, s0
	s_delay_alu instid0(SALU_CYCLE_1)
	s_and_not1_b32 exec_lo, exec_lo, s0
	s_cbranch_execnz .LBB25_7
.LBB25_8:
	s_endpgm
	.section	.rodata,"a",@progbits
	.p2align	6, 0x0
	.amdhsa_kernel _ZN9rocsparseL17coomvt_aos_kernelILj1024Ei21rocsparse_complex_numIdES2_S2_S2_EEv20rocsparse_operation_lNS_24const_host_device_scalarIT4_EEPKT0_PKT1_PKT2_PT3_21rocsparse_index_base_b
		.amdhsa_group_segment_fixed_size 8192
		.amdhsa_private_segment_fixed_size 0
		.amdhsa_kernarg_size 328
		.amdhsa_user_sgpr_count 15
		.amdhsa_user_sgpr_dispatch_ptr 1
		.amdhsa_user_sgpr_queue_ptr 0
		.amdhsa_user_sgpr_kernarg_segment_ptr 1
		.amdhsa_user_sgpr_dispatch_id 0
		.amdhsa_user_sgpr_private_segment_size 0
		.amdhsa_wavefront_size32 1
		.amdhsa_uses_dynamic_stack 0
		.amdhsa_enable_private_segment 0
		.amdhsa_system_sgpr_workgroup_id_x 1
		.amdhsa_system_sgpr_workgroup_id_y 0
		.amdhsa_system_sgpr_workgroup_id_z 0
		.amdhsa_system_sgpr_workgroup_info 0
		.amdhsa_system_vgpr_workitem_id 2
		.amdhsa_next_free_vgpr 18
		.amdhsa_next_free_sgpr 16
		.amdhsa_reserve_vcc 1
		.amdhsa_float_round_mode_32 0
		.amdhsa_float_round_mode_16_64 0
		.amdhsa_float_denorm_mode_32 3
		.amdhsa_float_denorm_mode_16_64 3
		.amdhsa_dx10_clamp 1
		.amdhsa_ieee_mode 1
		.amdhsa_fp16_overflow 0
		.amdhsa_workgroup_processor_mode 1
		.amdhsa_memory_ordered 1
		.amdhsa_forward_progress 0
		.amdhsa_shared_vgpr_count 0
		.amdhsa_exception_fp_ieee_invalid_op 0
		.amdhsa_exception_fp_denorm_src 0
		.amdhsa_exception_fp_ieee_div_zero 0
		.amdhsa_exception_fp_ieee_overflow 0
		.amdhsa_exception_fp_ieee_underflow 0
		.amdhsa_exception_fp_ieee_inexact 0
		.amdhsa_exception_int_div_zero 0
	.end_amdhsa_kernel
	.section	.text._ZN9rocsparseL17coomvt_aos_kernelILj1024Ei21rocsparse_complex_numIdES2_S2_S2_EEv20rocsparse_operation_lNS_24const_host_device_scalarIT4_EEPKT0_PKT1_PKT2_PT3_21rocsparse_index_base_b,"axG",@progbits,_ZN9rocsparseL17coomvt_aos_kernelILj1024Ei21rocsparse_complex_numIdES2_S2_S2_EEv20rocsparse_operation_lNS_24const_host_device_scalarIT4_EEPKT0_PKT1_PKT2_PT3_21rocsparse_index_base_b,comdat
.Lfunc_end25:
	.size	_ZN9rocsparseL17coomvt_aos_kernelILj1024Ei21rocsparse_complex_numIdES2_S2_S2_EEv20rocsparse_operation_lNS_24const_host_device_scalarIT4_EEPKT0_PKT1_PKT2_PT3_21rocsparse_index_base_b, .Lfunc_end25-_ZN9rocsparseL17coomvt_aos_kernelILj1024Ei21rocsparse_complex_numIdES2_S2_S2_EEv20rocsparse_operation_lNS_24const_host_device_scalarIT4_EEPKT0_PKT1_PKT2_PT3_21rocsparse_index_base_b
                                        ; -- End function
	.section	.AMDGPU.csdata,"",@progbits
; Kernel info:
; codeLenInByte = 692
; NumSgprs: 18
; NumVgprs: 18
; ScratchSize: 0
; MemoryBound: 0
; FloatMode: 240
; IeeeMode: 1
; LDSByteSize: 8192 bytes/workgroup (compile time only)
; SGPRBlocks: 2
; VGPRBlocks: 2
; NumSGPRsForWavesPerEU: 18
; NumVGPRsForWavesPerEU: 18
; Occupancy: 16
; WaveLimiterHint : 1
; COMPUTE_PGM_RSRC2:SCRATCH_EN: 0
; COMPUTE_PGM_RSRC2:USER_SGPR: 15
; COMPUTE_PGM_RSRC2:TRAP_HANDLER: 0
; COMPUTE_PGM_RSRC2:TGID_X_EN: 1
; COMPUTE_PGM_RSRC2:TGID_Y_EN: 0
; COMPUTE_PGM_RSRC2:TGID_Z_EN: 0
; COMPUTE_PGM_RSRC2:TIDIG_COMP_CNT: 2
	.section	.text._ZN9rocsparseL26coomvn_aos_segmented_loopsILj256Ei21rocsparse_complex_numIdES2_S2_S2_EEvlT0_NS_24const_host_device_scalarIT4_EEPKS3_PKT1_PKT2_PT3_PS3_PS5_21rocsparse_index_base_b,"axG",@progbits,_ZN9rocsparseL26coomvn_aos_segmented_loopsILj256Ei21rocsparse_complex_numIdES2_S2_S2_EEvlT0_NS_24const_host_device_scalarIT4_EEPKS3_PKT1_PKT2_PT3_PS3_PS5_21rocsparse_index_base_b,comdat
	.globl	_ZN9rocsparseL26coomvn_aos_segmented_loopsILj256Ei21rocsparse_complex_numIdES2_S2_S2_EEvlT0_NS_24const_host_device_scalarIT4_EEPKS3_PKT1_PKT2_PT3_PS3_PS5_21rocsparse_index_base_b ; -- Begin function _ZN9rocsparseL26coomvn_aos_segmented_loopsILj256Ei21rocsparse_complex_numIdES2_S2_S2_EEvlT0_NS_24const_host_device_scalarIT4_EEPKS3_PKT1_PKT2_PT3_PS3_PS5_21rocsparse_index_base_b
	.p2align	8
	.type	_ZN9rocsparseL26coomvn_aos_segmented_loopsILj256Ei21rocsparse_complex_numIdES2_S2_S2_EEvlT0_NS_24const_host_device_scalarIT4_EEPKS3_PKT1_PKT2_PT3_PS3_PS5_21rocsparse_index_base_b,@function
_ZN9rocsparseL26coomvn_aos_segmented_loopsILj256Ei21rocsparse_complex_numIdES2_S2_S2_EEvlT0_NS_24const_host_device_scalarIT4_EEPKS3_PKT1_PKT2_PT3_PS3_PS5_21rocsparse_index_base_b: ; @_ZN9rocsparseL26coomvn_aos_segmented_loopsILj256Ei21rocsparse_complex_numIdES2_S2_S2_EEvlT0_NS_24const_host_device_scalarIT4_EEPKS3_PKT1_PKT2_PT3_PS3_PS5_21rocsparse_index_base_b
; %bb.0:
	s_load_b64 s[0:1], s[0:1], 0x4
	s_clause 0x1
	s_load_b64 s[22:23], s[2:3], 0x50
	s_load_b128 s[4:7], s[2:3], 0x10
	v_and_b32_e32 v16, 0x3ff, v0
	v_bfe_u32 v2, v0, 10, 10
	v_bfe_u32 v0, v0, 20, 10
	s_mov_b32 s20, s15
	s_waitcnt lgkmcnt(0)
	s_lshr_b32 s0, s0, 16
	v_mov_b32_e32 v6, s6
	s_mul_i32 s0, s0, s1
	v_mov_b32_e32 v7, s7
	v_mul_lo_u32 v1, s0, v16
	s_and_b32 s0, 1, s23
	s_delay_alu instid0(SALU_CYCLE_1) | instskip(SKIP_1) | instid1(VALU_DEP_1)
	s_cmp_eq_u32 s0, 1
	s_cselect_b32 vcc_lo, -1, 0
	v_mad_u32_u24 v1, v2, s1, v1
	s_mov_b64 s[0:1], src_shared_base
	v_dual_mov_b32 v2, s4 :: v_dual_mov_b32 v3, s5
	s_delay_alu instid0(VALU_DEP_2) | instskip(NEXT) | instid1(VALU_DEP_1)
	v_add_lshl_u32 v4, v1, v0, 3
	v_add_nc_u32_e32 v0, 0x1400, v4
	ds_store_b64 v4, v[2:3] offset:5120
	v_cndmask_b32_e32 v0, s4, v0, vcc_lo
	s_and_b32 vcc_lo, exec_lo, vcc_lo
	s_cselect_b32 s0, s1, s5
	s_delay_alu instid0(SALU_CYCLE_1)
	v_mov_b32_e32 v1, s0
	flat_load_b64 v[4:5], v[0:1]
	s_cbranch_vccnz .LBB26_2
; %bb.1:
	v_dual_mov_b32 v0, s4 :: v_dual_mov_b32 v1, s5
	flat_load_b64 v[6:7], v[0:1] offset:8
.LBB26_2:
	s_waitcnt vmcnt(0) lgkmcnt(0)
	v_cmp_neq_f64_e32 vcc_lo, 0, v[4:5]
	v_cmp_neq_f64_e64 s0, 0, v[6:7]
	s_delay_alu instid0(VALU_DEP_1) | instskip(NEXT) | instid1(SALU_CYCLE_1)
	s_or_b32 s0, vcc_lo, s0
	s_and_saveexec_b32 s1, s0
	s_cbranch_execz .LBB26_89
; %bb.3:
	s_clause 0x3
	s_load_b32 s21, s[2:3], 0x8
	s_load_b64 s[24:25], s[2:3], 0x0
	s_load_b128 s[16:19], s[2:3], 0x20
	s_load_b64 s[28:29], s[2:3], 0x30
	v_dual_mov_b32 v15, 0 :: v_dual_mov_b32 v0, 0
	v_dual_mov_b32 v1, 0 :: v_dual_mov_b32 v8, -1
	s_delay_alu instid0(VALU_DEP_1) | instskip(SKIP_2) | instid1(SALU_CYCLE_1)
	v_dual_mov_b32 v3, v1 :: v_dual_mov_b32 v2, v0
	s_waitcnt lgkmcnt(0)
	s_mul_i32 s0, s20, s21
	v_lshl_or_b32 v14, s0, 8, v16
	s_mov_b32 s0, exec_lo
	s_delay_alu instid0(VALU_DEP_1)
	v_lshlrev_b64 v[10:11], 3, v[14:15]
	v_lshlrev_b64 v[12:13], 4, v[14:15]
	v_cmpx_gt_i64_e64 s[24:25], v[14:15]
	s_cbranch_execz .LBB26_5
; %bb.4:
	s_delay_alu instid0(VALU_DEP_3) | instskip(NEXT) | instid1(VALU_DEP_4)
	v_add_co_u32 v0, vcc_lo, s16, v10
	v_add_co_ci_u32_e32 v1, vcc_lo, s17, v11, vcc_lo
	s_delay_alu instid0(VALU_DEP_4) | instskip(SKIP_3) | instid1(SALU_CYCLE_1)
	v_add_co_u32 v2, vcc_lo, s18, v12
	v_add_co_ci_u32_e32 v3, vcc_lo, s19, v13, vcc_lo
	global_load_b64 v[8:9], v[0:1], off slc dlc
	s_ashr_i32 s23, s22, 31
	s_lshl_b64 s[4:5], s[22:23], 4
	s_waitcnt vmcnt(0)
	v_ashrrev_i32_e32 v1, 31, v9
	v_mov_b32_e32 v0, v9
	v_subrev_nc_u32_e32 v8, s22, v8
	s_delay_alu instid0(VALU_DEP_2) | instskip(NEXT) | instid1(VALU_DEP_1)
	v_lshlrev_b64 v[0:1], 4, v[0:1]
	v_add_co_u32 v0, vcc_lo, s28, v0
	s_delay_alu instid0(VALU_DEP_2) | instskip(NEXT) | instid1(VALU_DEP_2)
	v_add_co_ci_u32_e32 v1, vcc_lo, s29, v1, vcc_lo
	v_sub_co_u32 v17, vcc_lo, v0, s4
	s_delay_alu instid0(VALU_DEP_2)
	v_subrev_co_ci_u32_e32 v18, vcc_lo, s5, v1, vcc_lo
	global_load_b128 v[0:3], v[2:3], off slc dlc
	global_load_b128 v[17:20], v[17:18], off
	s_waitcnt vmcnt(0)
	v_mul_f64 v[21:22], v[19:20], -v[2:3]
	v_mul_f64 v[19:20], v[0:1], v[19:20]
	s_delay_alu instid0(VALU_DEP_2) | instskip(NEXT) | instid1(VALU_DEP_2)
	v_fma_f64 v[0:1], v[0:1], v[17:18], v[21:22]
	v_fma_f64 v[2:3], v[2:3], v[17:18], v[19:20]
.LBB26_5:
	s_or_b32 exec_lo, exec_lo, s0
	v_lshlrev_b32_e32 v9, 2, v16
	v_lshlrev_b32_e32 v18, 4, v16
	v_cmp_eq_u32_e32 vcc_lo, 0, v16
	v_cmp_ne_u32_e64 s0, 0, v16
	ds_store_b32 v9, v8 offset:4096
	ds_store_b128 v18, v[0:3]
	v_or_b32_e32 v17, 0x1000, v9
	s_waitcnt lgkmcnt(0)
	s_barrier
	buffer_gl0_inv
	v_add_nc_u32_e32 v19, -4, v17
	s_and_saveexec_b32 s4, s0
	s_cbranch_execz .LBB26_9
; %bb.6:
	ds_load_b32 v9, v19
	s_mov_b32 s5, exec_lo
	s_waitcnt lgkmcnt(0)
	v_cmpx_eq_u32_e64 v8, v9
	s_cbranch_execz .LBB26_8
; %bb.7:
	v_add_nc_u32_e32 v9, -16, v18
	ds_load_b128 v[20:23], v9
	s_waitcnt lgkmcnt(0)
	v_add_f64 v[0:1], v[0:1], v[20:21]
	v_add_f64 v[2:3], v[2:3], v[22:23]
.LBB26_8:
	s_or_b32 exec_lo, exec_lo, s5
.LBB26_9:
	s_delay_alu instid0(SALU_CYCLE_1)
	s_or_b32 exec_lo, exec_lo, s4
	v_cmp_lt_u32_e64 s1, 1, v16
	v_add_nc_u32_e32 v20, -8, v17
	s_barrier
	buffer_gl0_inv
	ds_store_b128 v18, v[0:3]
	s_waitcnt lgkmcnt(0)
	s_barrier
	buffer_gl0_inv
	s_and_saveexec_b32 s5, s1
	s_cbranch_execz .LBB26_13
; %bb.10:
	ds_load_b32 v9, v20
	s_mov_b32 s6, exec_lo
	s_waitcnt lgkmcnt(0)
	v_cmpx_eq_u32_e64 v8, v9
	s_cbranch_execz .LBB26_12
; %bb.11:
	v_subrev_nc_u32_e32 v9, 32, v18
	ds_load_b128 v[21:24], v9
	s_waitcnt lgkmcnt(0)
	v_add_f64 v[0:1], v[0:1], v[21:22]
	v_add_f64 v[2:3], v[2:3], v[23:24]
.LBB26_12:
	s_or_b32 exec_lo, exec_lo, s6
.LBB26_13:
	s_delay_alu instid0(SALU_CYCLE_1)
	s_or_b32 exec_lo, exec_lo, s5
	v_cmp_lt_u32_e64 s4, 3, v16
	v_add_nc_u32_e32 v21, -16, v17
	s_barrier
	buffer_gl0_inv
	ds_store_b128 v18, v[0:3]
	s_waitcnt lgkmcnt(0)
	s_barrier
	buffer_gl0_inv
	s_and_saveexec_b32 s6, s4
	s_cbranch_execz .LBB26_17
; %bb.14:
	ds_load_b32 v9, v21
	s_mov_b32 s7, exec_lo
	s_waitcnt lgkmcnt(0)
	v_cmpx_eq_u32_e64 v8, v9
	s_cbranch_execz .LBB26_16
; %bb.15:
	v_subrev_nc_u32_e32 v9, 64, v18
	ds_load_b128 v[22:25], v9
	s_waitcnt lgkmcnt(0)
	v_add_f64 v[0:1], v[0:1], v[22:23]
	v_add_f64 v[2:3], v[2:3], v[24:25]
.LBB26_16:
	s_or_b32 exec_lo, exec_lo, s7
.LBB26_17:
	s_delay_alu instid0(SALU_CYCLE_1)
	s_or_b32 exec_lo, exec_lo, s6
	v_cmp_lt_u32_e64 s5, 7, v16
	v_subrev_nc_u32_e32 v22, 32, v17
	s_barrier
	buffer_gl0_inv
	ds_store_b128 v18, v[0:3]
	s_waitcnt lgkmcnt(0)
	s_barrier
	buffer_gl0_inv
	s_and_saveexec_b32 s7, s5
	s_cbranch_execz .LBB26_21
; %bb.18:
	ds_load_b32 v9, v22
	s_mov_b32 s8, exec_lo
	s_waitcnt lgkmcnt(0)
	v_cmpx_eq_u32_e64 v8, v9
	s_cbranch_execz .LBB26_20
; %bb.19:
	v_add_nc_u32_e32 v9, 0xffffff80, v18
	ds_load_b128 v[23:26], v9
	s_waitcnt lgkmcnt(0)
	v_add_f64 v[0:1], v[0:1], v[23:24]
	v_add_f64 v[2:3], v[2:3], v[25:26]
.LBB26_20:
	s_or_b32 exec_lo, exec_lo, s8
.LBB26_21:
	s_delay_alu instid0(SALU_CYCLE_1)
	s_or_b32 exec_lo, exec_lo, s7
	v_cmp_lt_u32_e64 s6, 15, v16
	v_subrev_nc_u32_e32 v23, 64, v17
	s_barrier
	buffer_gl0_inv
	ds_store_b128 v18, v[0:3]
	s_waitcnt lgkmcnt(0)
	s_barrier
	buffer_gl0_inv
	s_and_saveexec_b32 s8, s6
	s_cbranch_execz .LBB26_25
; %bb.22:
	ds_load_b32 v9, v23
	s_mov_b32 s9, exec_lo
	s_waitcnt lgkmcnt(0)
	v_cmpx_eq_u32_e64 v8, v9
	s_cbranch_execz .LBB26_24
; %bb.23:
	v_add_nc_u32_e32 v9, 0xffffff00, v18
	ds_load_b128 v[24:27], v9
	s_waitcnt lgkmcnt(0)
	v_add_f64 v[0:1], v[0:1], v[24:25]
	v_add_f64 v[2:3], v[2:3], v[26:27]
.LBB26_24:
	s_or_b32 exec_lo, exec_lo, s9
.LBB26_25:
	s_delay_alu instid0(SALU_CYCLE_1)
	s_or_b32 exec_lo, exec_lo, s8
	v_cmp_lt_u32_e64 s7, 31, v16
	v_add_nc_u32_e32 v24, 0xffffff80, v17
	s_barrier
	buffer_gl0_inv
	ds_store_b128 v18, v[0:3]
	s_waitcnt lgkmcnt(0)
	s_barrier
	buffer_gl0_inv
	s_and_saveexec_b32 s9, s7
	s_cbranch_execz .LBB26_29
; %bb.26:
	ds_load_b32 v9, v24
	s_mov_b32 s10, exec_lo
	s_waitcnt lgkmcnt(0)
	v_cmpx_eq_u32_e64 v8, v9
	s_cbranch_execz .LBB26_28
; %bb.27:
	v_add_nc_u32_e32 v9, 0xfffffe00, v18
	ds_load_b128 v[25:28], v9
	s_waitcnt lgkmcnt(0)
	v_add_f64 v[0:1], v[0:1], v[25:26]
	v_add_f64 v[2:3], v[2:3], v[27:28]
.LBB26_28:
	s_or_b32 exec_lo, exec_lo, s10
.LBB26_29:
	s_delay_alu instid0(SALU_CYCLE_1)
	s_or_b32 exec_lo, exec_lo, s9
	v_cmp_lt_u32_e64 s8, 63, v16
	v_add_nc_u32_e32 v25, 0xffffff00, v17
	s_barrier
	buffer_gl0_inv
	ds_store_b128 v18, v[0:3]
	s_waitcnt lgkmcnt(0)
	s_barrier
	buffer_gl0_inv
	s_and_saveexec_b32 s10, s8
	s_cbranch_execz .LBB26_33
; %bb.30:
	ds_load_b32 v9, v25
	s_mov_b32 s11, exec_lo
	s_waitcnt lgkmcnt(0)
	v_cmpx_eq_u32_e64 v8, v9
	s_cbranch_execz .LBB26_32
; %bb.31:
	v_add_nc_u32_e32 v9, 0xfffffc00, v18
	ds_load_b128 v[26:29], v9
	s_waitcnt lgkmcnt(0)
	v_add_f64 v[0:1], v[0:1], v[26:27]
	v_add_f64 v[2:3], v[2:3], v[28:29]
.LBB26_32:
	s_or_b32 exec_lo, exec_lo, s11
.LBB26_33:
	s_delay_alu instid0(SALU_CYCLE_1)
	s_or_b32 exec_lo, exec_lo, s10
	s_load_b64 s[26:27], s[2:3], 0x38
	v_cmp_lt_u32_e64 s9, 0x7f, v16
	v_add_nc_u32_e32 v26, 0xfffffe00, v17
	s_waitcnt lgkmcnt(0)
	s_barrier
	buffer_gl0_inv
	ds_store_b128 v18, v[0:3]
	s_waitcnt lgkmcnt(0)
	s_barrier
	buffer_gl0_inv
	s_and_saveexec_b32 s11, s9
	s_cbranch_execz .LBB26_37
; %bb.34:
	ds_load_b32 v9, v26
	s_mov_b32 s12, exec_lo
	s_waitcnt lgkmcnt(0)
	v_cmpx_eq_u32_e64 v8, v9
	s_cbranch_execz .LBB26_36
; %bb.35:
	v_add_nc_u32_e32 v9, 0xfffff800, v18
	ds_load_b128 v[27:30], v9
	s_waitcnt lgkmcnt(0)
	v_add_f64 v[0:1], v[0:1], v[27:28]
	v_add_f64 v[2:3], v[2:3], v[29:30]
.LBB26_36:
	s_or_b32 exec_lo, exec_lo, s12
.LBB26_37:
	s_delay_alu instid0(SALU_CYCLE_1)
	s_or_b32 exec_lo, exec_lo, s11
	v_cmp_gt_u32_e64 s10, 0xff, v16
	s_barrier
	buffer_gl0_inv
	ds_store_b128 v18, v[0:3]
	s_waitcnt lgkmcnt(0)
	s_barrier
	buffer_gl0_inv
	s_and_saveexec_b32 s13, s10
	s_cbranch_execz .LBB26_40
; %bb.38:
	ds_load_b32 v9, v17 offset:4
	v_cmp_lt_i32_e64 s12, -1, v8
	s_waitcnt lgkmcnt(0)
	v_cmp_ne_u32_e64 s11, v8, v9
	s_delay_alu instid0(VALU_DEP_1) | instskip(NEXT) | instid1(SALU_CYCLE_1)
	s_and_b32 s11, s12, s11
	s_and_b32 exec_lo, exec_lo, s11
	s_cbranch_execz .LBB26_40
; %bb.39:
	v_mov_b32_e32 v9, 0
	s_delay_alu instid0(VALU_DEP_1) | instskip(NEXT) | instid1(VALU_DEP_1)
	v_lshlrev_b64 v[27:28], 4, v[8:9]
	v_add_co_u32 v31, s11, s26, v27
	s_delay_alu instid0(VALU_DEP_1) | instskip(SKIP_4) | instid1(VALU_DEP_2)
	v_add_co_ci_u32_e64 v32, s11, s27, v28, s11
	global_load_b128 v[27:30], v[31:32], off
	s_waitcnt vmcnt(0)
	v_fma_f64 v[27:28], v[4:5], v[0:1], v[27:28]
	v_fma_f64 v[29:30], v[6:7], v[0:1], v[29:30]
	v_fma_f64 v[27:28], -v[6:7], v[2:3], v[27:28]
	s_delay_alu instid0(VALU_DEP_2)
	v_fma_f64 v[29:30], v[4:5], v[2:3], v[29:30]
	global_store_b128 v[31:32], v[27:30], off
.LBB26_40:
	s_or_b32 exec_lo, exec_lo, s13
	s_load_b128 s[12:15], s[2:3], 0x40
	s_cmp_lt_i32 s21, 2
	s_cbranch_scc1 .LBB26_87
; %bb.41:
	s_ashr_i32 s23, s22, 31
	v_add_nc_u32_e32 v27, -16, v18
	s_lshl_b64 s[2:3], s[22:23], 4
	v_subrev_nc_u32_e32 v28, 32, v18
	s_sub_u32 s11, s28, s2
	v_add_co_u32 v0, s2, v12, s18
	s_delay_alu instid0(VALU_DEP_1) | instskip(SKIP_1) | instid1(VALU_DEP_1)
	v_add_co_ci_u32_e64 v1, s2, s19, v13, s2
	v_add_co_u32 v2, s2, v10, s16
	v_add_co_ci_u32_e64 v3, s2, s17, v11, s2
	s_delay_alu instid0(VALU_DEP_4) | instskip(NEXT) | instid1(VALU_DEP_1)
	v_add_co_u32 v10, s2, 0x1008, v0
	v_add_co_ci_u32_e64 v11, s2, 0, v1, s2
	s_delay_alu instid0(VALU_DEP_4) | instskip(NEXT) | instid1(VALU_DEP_1)
	v_add_co_u32 v12, s2, 0x800, v2
	v_add_co_ci_u32_e64 v13, s2, 0, v3, s2
	v_add_co_u32 v14, s2, 0x100, v14
	v_subrev_nc_u32_e32 v29, 64, v18
	v_dual_mov_b32 v9, 0 :: v_dual_add_nc_u32 v30, 0xffffff80, v18
	v_add_nc_u32_e32 v31, 0xffffff00, v18
	v_add_nc_u32_e32 v32, 0xfffffe00, v18
	;; [unrolled: 1-line block ×4, first 2 shown]
	v_add_co_ci_u32_e64 v15, null, 0, 0, s2
	s_subb_u32 s18, s29, s3
	s_add_i32 s19, s21, -1
	s_mov_b32 s17, 0
	s_branch .LBB26_43
.LBB26_42:                              ;   in Loop: Header=BB26_43 Depth=1
	s_or_b32 exec_lo, exec_lo, s16
	v_add_co_u32 v10, s2, 0x1000, v10
	s_delay_alu instid0(VALU_DEP_1) | instskip(SKIP_1) | instid1(VALU_DEP_1)
	v_add_co_ci_u32_e64 v11, s2, 0, v11, s2
	v_add_co_u32 v12, s2, 0x800, v12
	v_add_co_ci_u32_e64 v13, s2, 0, v13, s2
	v_add_co_u32 v14, s2, 0x100, v14
	s_delay_alu instid0(VALU_DEP_1) | instskip(SKIP_1) | instid1(SALU_CYCLE_1)
	v_add_co_ci_u32_e64 v15, s2, 0, v15, s2
	s_add_i32 s19, s19, -1
	s_cmp_eq_u32 s19, 0
	s_cbranch_scc1 .LBB26_87
.LBB26_43:                              ; =>This Inner Loop Header: Depth=1
	v_mov_b32_e32 v0, 0
	v_dual_mov_b32 v1, 0 :: v_dual_mov_b32 v8, -1
	s_mov_b32 s3, exec_lo
	s_delay_alu instid0(VALU_DEP_1)
	v_dual_mov_b32 v3, v1 :: v_dual_mov_b32 v2, v0
	v_cmpx_gt_i64_e64 s[24:25], v[14:15]
	s_cbranch_execz .LBB26_45
; %bb.44:                               ;   in Loop: Header=BB26_43 Depth=1
	global_load_b64 v[39:40], v[12:13], off slc dlc
	s_waitcnt vmcnt(0)
	v_ashrrev_i32_e32 v1, 31, v40
	v_mov_b32_e32 v0, v40
	v_subrev_nc_u32_e32 v8, s22, v39
	s_delay_alu instid0(VALU_DEP_2) | instskip(NEXT) | instid1(VALU_DEP_1)
	v_lshlrev_b64 v[0:1], 4, v[0:1]
	v_add_co_u32 v35, s2, s11, v0
	s_delay_alu instid0(VALU_DEP_1)
	v_add_co_ci_u32_e64 v36, s2, s18, v1, s2
	global_load_b128 v[0:3], v[10:11], off offset:-8 slc dlc
	global_load_b128 v[35:38], v[35:36], off
	s_waitcnt vmcnt(0)
	v_mul_f64 v[40:41], v[37:38], -v[2:3]
	v_mul_f64 v[37:38], v[0:1], v[37:38]
	s_delay_alu instid0(VALU_DEP_2) | instskip(NEXT) | instid1(VALU_DEP_2)
	v_fma_f64 v[0:1], v[0:1], v[35:36], v[40:41]
	v_fma_f64 v[2:3], v[2:3], v[35:36], v[37:38]
.LBB26_45:                              ;   in Loop: Header=BB26_43 Depth=1
	s_or_b32 exec_lo, exec_lo, s3
	s_and_saveexec_b32 s3, vcc_lo
	s_cbranch_execz .LBB26_52
; %bb.46:                               ;   in Loop: Header=BB26_43 Depth=1
	ds_load_b32 v35, v9 offset:5116
	s_waitcnt lgkmcnt(0)
	v_readfirstlane_b32 s16, v35
	v_cmp_ne_u32_e64 s2, v8, v35
	s_delay_alu instid0(VALU_DEP_1) | instskip(NEXT) | instid1(SALU_CYCLE_1)
	s_and_saveexec_b32 s21, s2
	s_xor_b32 s2, exec_lo, s21
	s_cbranch_execz .LBB26_49
; %bb.47:                               ;   in Loop: Header=BB26_43 Depth=1
	s_cmp_lt_i32 s16, 0
	s_cbranch_scc1 .LBB26_49
; %bb.48:                               ;   in Loop: Header=BB26_43 Depth=1
	s_lshl_b64 s[28:29], s[16:17], 4
	ds_load_b128 v[39:42], v9 offset:4080
	s_add_u32 s28, s26, s28
	s_addc_u32 s29, s27, s29
	global_load_b128 v[35:38], v9, s[28:29]
	s_waitcnt vmcnt(0) lgkmcnt(0)
	v_fma_f64 v[35:36], v[4:5], v[39:40], v[35:36]
	v_fma_f64 v[37:38], v[6:7], v[39:40], v[37:38]
	s_delay_alu instid0(VALU_DEP_2) | instskip(NEXT) | instid1(VALU_DEP_2)
	v_fma_f64 v[35:36], -v[6:7], v[41:42], v[35:36]
	v_fma_f64 v[37:38], v[4:5], v[41:42], v[37:38]
	global_store_b128 v9, v[35:38], s[28:29]
.LBB26_49:                              ;   in Loop: Header=BB26_43 Depth=1
	s_and_not1_saveexec_b32 s2, s2
	s_cbranch_execz .LBB26_51
; %bb.50:                               ;   in Loop: Header=BB26_43 Depth=1
	ds_load_b128 v[35:38], v9 offset:4080
	s_waitcnt lgkmcnt(0)
	v_add_f64 v[0:1], v[0:1], v[35:36]
	v_add_f64 v[2:3], v[2:3], v[37:38]
.LBB26_51:                              ;   in Loop: Header=BB26_43 Depth=1
	s_or_b32 exec_lo, exec_lo, s2
.LBB26_52:                              ;   in Loop: Header=BB26_43 Depth=1
	s_delay_alu instid0(SALU_CYCLE_1)
	s_or_b32 exec_lo, exec_lo, s3
	s_waitcnt lgkmcnt(0)
	s_waitcnt_vscnt null, 0x0
	s_barrier
	buffer_gl0_inv
	ds_store_b32 v17, v8
	ds_store_b128 v18, v[0:3]
	s_waitcnt lgkmcnt(0)
	s_barrier
	buffer_gl0_inv
	s_and_saveexec_b32 s3, s0
	s_cbranch_execz .LBB26_56
; %bb.53:                               ;   in Loop: Header=BB26_43 Depth=1
	ds_load_b32 v35, v19
	s_mov_b32 s16, exec_lo
	s_waitcnt lgkmcnt(0)
	v_cmpx_eq_u32_e64 v8, v35
	s_cbranch_execz .LBB26_55
; %bb.54:                               ;   in Loop: Header=BB26_43 Depth=1
	ds_load_b128 v[35:38], v27
	s_waitcnt lgkmcnt(0)
	v_add_f64 v[0:1], v[0:1], v[35:36]
	v_add_f64 v[2:3], v[2:3], v[37:38]
.LBB26_55:                              ;   in Loop: Header=BB26_43 Depth=1
	s_or_b32 exec_lo, exec_lo, s16
.LBB26_56:                              ;   in Loop: Header=BB26_43 Depth=1
	s_delay_alu instid0(SALU_CYCLE_1)
	s_or_b32 exec_lo, exec_lo, s3
	s_barrier
	buffer_gl0_inv
	ds_store_b128 v18, v[0:3]
	s_waitcnt lgkmcnt(0)
	s_barrier
	buffer_gl0_inv
	s_and_saveexec_b32 s3, s1
	s_cbranch_execz .LBB26_60
; %bb.57:                               ;   in Loop: Header=BB26_43 Depth=1
	ds_load_b32 v35, v20
	s_mov_b32 s16, exec_lo
	s_waitcnt lgkmcnt(0)
	v_cmpx_eq_u32_e64 v8, v35
	s_cbranch_execz .LBB26_59
; %bb.58:                               ;   in Loop: Header=BB26_43 Depth=1
	ds_load_b128 v[35:38], v28
	s_waitcnt lgkmcnt(0)
	v_add_f64 v[0:1], v[0:1], v[35:36]
	v_add_f64 v[2:3], v[2:3], v[37:38]
.LBB26_59:                              ;   in Loop: Header=BB26_43 Depth=1
	s_or_b32 exec_lo, exec_lo, s16
.LBB26_60:                              ;   in Loop: Header=BB26_43 Depth=1
	s_delay_alu instid0(SALU_CYCLE_1)
	s_or_b32 exec_lo, exec_lo, s3
	s_barrier
	buffer_gl0_inv
	;; [unrolled: 24-line block ×8, first 2 shown]
	ds_store_b128 v18, v[0:3]
	s_waitcnt lgkmcnt(0)
	s_barrier
	buffer_gl0_inv
	s_and_saveexec_b32 s16, s10
	s_cbranch_execz .LBB26_42
; %bb.85:                               ;   in Loop: Header=BB26_43 Depth=1
	ds_load_b32 v35, v17 offset:4
	v_cmp_lt_i32_e64 s3, -1, v8
	s_waitcnt lgkmcnt(0)
	v_cmp_ne_u32_e64 s2, v8, v35
	s_delay_alu instid0(VALU_DEP_1) | instskip(NEXT) | instid1(SALU_CYCLE_1)
	s_and_b32 s2, s3, s2
	s_and_b32 exec_lo, exec_lo, s2
	s_cbranch_execz .LBB26_42
; %bb.86:                               ;   in Loop: Header=BB26_43 Depth=1
	v_lshlrev_b64 v[35:36], 4, v[8:9]
	s_delay_alu instid0(VALU_DEP_1) | instskip(NEXT) | instid1(VALU_DEP_1)
	v_add_co_u32 v39, s2, s26, v35
	v_add_co_ci_u32_e64 v40, s2, s27, v36, s2
	global_load_b128 v[35:38], v[39:40], off
	s_waitcnt vmcnt(0)
	v_fma_f64 v[35:36], v[4:5], v[0:1], v[35:36]
	v_fma_f64 v[37:38], v[6:7], v[0:1], v[37:38]
	s_delay_alu instid0(VALU_DEP_2) | instskip(NEXT) | instid1(VALU_DEP_2)
	v_fma_f64 v[35:36], -v[6:7], v[2:3], v[35:36]
	v_fma_f64 v[37:38], v[4:5], v[2:3], v[37:38]
	global_store_b128 v[39:40], v[35:38], off
	s_branch .LBB26_42
.LBB26_87:
	v_cmp_eq_u32_e32 vcc_lo, 0xff, v16
	s_and_b32 exec_lo, exec_lo, vcc_lo
	s_cbranch_execz .LBB26_89
; %bb.88:
	v_mul_f64 v[9:10], v[2:3], -v[6:7]
	v_mul_f64 v[11:12], v[4:5], v[2:3]
	s_mov_b32 s21, 0
	s_delay_alu instid0(SALU_CYCLE_1) | instskip(SKIP_4) | instid1(SALU_CYCLE_1)
	s_lshl_b64 s[0:1], s[20:21], 2
	s_waitcnt lgkmcnt(0)
	s_add_u32 s0, s12, s0
	s_addc_u32 s1, s13, s1
	s_lshl_b64 s[2:3], s[20:21], 4
	s_add_u32 s2, s14, s2
	s_addc_u32 s3, s15, s3
	s_delay_alu instid0(VALU_DEP_2) | instskip(NEXT) | instid1(VALU_DEP_2)
	v_fma_f64 v[2:3], v[4:5], v[0:1], v[9:10]
	v_fma_f64 v[4:5], v[6:7], v[0:1], v[11:12]
	v_mov_b32_e32 v0, 0
	s_clause 0x1
	global_store_b32 v0, v8, s[0:1] glc slc dlc
	global_store_b128 v0, v[2:5], s[2:3] glc slc dlc
.LBB26_89:
	s_nop 0
	s_sendmsg sendmsg(MSG_DEALLOC_VGPRS)
	s_endpgm
	.section	.rodata,"a",@progbits
	.p2align	6, 0x0
	.amdhsa_kernel _ZN9rocsparseL26coomvn_aos_segmented_loopsILj256Ei21rocsparse_complex_numIdES2_S2_S2_EEvlT0_NS_24const_host_device_scalarIT4_EEPKS3_PKT1_PKT2_PT3_PS3_PS5_21rocsparse_index_base_b
		.amdhsa_group_segment_fixed_size 7168
		.amdhsa_private_segment_fixed_size 0
		.amdhsa_kernarg_size 88
		.amdhsa_user_sgpr_count 15
		.amdhsa_user_sgpr_dispatch_ptr 1
		.amdhsa_user_sgpr_queue_ptr 0
		.amdhsa_user_sgpr_kernarg_segment_ptr 1
		.amdhsa_user_sgpr_dispatch_id 0
		.amdhsa_user_sgpr_private_segment_size 0
		.amdhsa_wavefront_size32 1
		.amdhsa_uses_dynamic_stack 0
		.amdhsa_enable_private_segment 0
		.amdhsa_system_sgpr_workgroup_id_x 1
		.amdhsa_system_sgpr_workgroup_id_y 0
		.amdhsa_system_sgpr_workgroup_id_z 0
		.amdhsa_system_sgpr_workgroup_info 0
		.amdhsa_system_vgpr_workitem_id 2
		.amdhsa_next_free_vgpr 43
		.amdhsa_next_free_sgpr 30
		.amdhsa_reserve_vcc 1
		.amdhsa_float_round_mode_32 0
		.amdhsa_float_round_mode_16_64 0
		.amdhsa_float_denorm_mode_32 3
		.amdhsa_float_denorm_mode_16_64 3
		.amdhsa_dx10_clamp 1
		.amdhsa_ieee_mode 1
		.amdhsa_fp16_overflow 0
		.amdhsa_workgroup_processor_mode 1
		.amdhsa_memory_ordered 1
		.amdhsa_forward_progress 0
		.amdhsa_shared_vgpr_count 0
		.amdhsa_exception_fp_ieee_invalid_op 0
		.amdhsa_exception_fp_denorm_src 0
		.amdhsa_exception_fp_ieee_div_zero 0
		.amdhsa_exception_fp_ieee_overflow 0
		.amdhsa_exception_fp_ieee_underflow 0
		.amdhsa_exception_fp_ieee_inexact 0
		.amdhsa_exception_int_div_zero 0
	.end_amdhsa_kernel
	.section	.text._ZN9rocsparseL26coomvn_aos_segmented_loopsILj256Ei21rocsparse_complex_numIdES2_S2_S2_EEvlT0_NS_24const_host_device_scalarIT4_EEPKS3_PKT1_PKT2_PT3_PS3_PS5_21rocsparse_index_base_b,"axG",@progbits,_ZN9rocsparseL26coomvn_aos_segmented_loopsILj256Ei21rocsparse_complex_numIdES2_S2_S2_EEvlT0_NS_24const_host_device_scalarIT4_EEPKS3_PKT1_PKT2_PT3_PS3_PS5_21rocsparse_index_base_b,comdat
.Lfunc_end26:
	.size	_ZN9rocsparseL26coomvn_aos_segmented_loopsILj256Ei21rocsparse_complex_numIdES2_S2_S2_EEvlT0_NS_24const_host_device_scalarIT4_EEPKS3_PKT1_PKT2_PT3_PS3_PS5_21rocsparse_index_base_b, .Lfunc_end26-_ZN9rocsparseL26coomvn_aos_segmented_loopsILj256Ei21rocsparse_complex_numIdES2_S2_S2_EEvlT0_NS_24const_host_device_scalarIT4_EEPKS3_PKT1_PKT2_PT3_PS3_PS5_21rocsparse_index_base_b
                                        ; -- End function
	.section	.AMDGPU.csdata,"",@progbits
; Kernel info:
; codeLenInByte = 3632
; NumSgprs: 32
; NumVgprs: 43
; ScratchSize: 0
; MemoryBound: 1
; FloatMode: 240
; IeeeMode: 1
; LDSByteSize: 7168 bytes/workgroup (compile time only)
; SGPRBlocks: 3
; VGPRBlocks: 5
; NumSGPRsForWavesPerEU: 32
; NumVGPRsForWavesPerEU: 43
; Occupancy: 16
; WaveLimiterHint : 1
; COMPUTE_PGM_RSRC2:SCRATCH_EN: 0
; COMPUTE_PGM_RSRC2:USER_SGPR: 15
; COMPUTE_PGM_RSRC2:TRAP_HANDLER: 0
; COMPUTE_PGM_RSRC2:TGID_X_EN: 1
; COMPUTE_PGM_RSRC2:TGID_Y_EN: 0
; COMPUTE_PGM_RSRC2:TGID_Z_EN: 0
; COMPUTE_PGM_RSRC2:TIDIG_COMP_CNT: 2
	.section	.text._ZN9rocsparseL29coomvn_segmented_loops_reduceILj256Ei21rocsparse_complex_numIdES2_EEvT0_NS_24const_host_device_scalarIT2_EEPKS3_PKS5_PT1_b,"axG",@progbits,_ZN9rocsparseL29coomvn_segmented_loops_reduceILj256Ei21rocsparse_complex_numIdES2_EEvT0_NS_24const_host_device_scalarIT2_EEPKS3_PKS5_PT1_b,comdat
	.globl	_ZN9rocsparseL29coomvn_segmented_loops_reduceILj256Ei21rocsparse_complex_numIdES2_EEvT0_NS_24const_host_device_scalarIT2_EEPKS3_PKS5_PT1_b ; -- Begin function _ZN9rocsparseL29coomvn_segmented_loops_reduceILj256Ei21rocsparse_complex_numIdES2_EEvT0_NS_24const_host_device_scalarIT2_EEPKS3_PKS5_PT1_b
	.p2align	8
	.type	_ZN9rocsparseL29coomvn_segmented_loops_reduceILj256Ei21rocsparse_complex_numIdES2_EEvT0_NS_24const_host_device_scalarIT2_EEPKS3_PKS5_PT1_b,@function
_ZN9rocsparseL29coomvn_segmented_loops_reduceILj256Ei21rocsparse_complex_numIdES2_EEvT0_NS_24const_host_device_scalarIT2_EEPKS3_PKS5_PT1_b: ; @_ZN9rocsparseL29coomvn_segmented_loops_reduceILj256Ei21rocsparse_complex_numIdES2_EEvT0_NS_24const_host_device_scalarIT2_EEPKS3_PKS5_PT1_b
; %bb.0:
	s_load_b64 s[0:1], s[0:1], 0x4
	s_clause 0x1
	s_load_b32 s8, s[2:3], 0x30
	s_load_b128 s[4:7], s[2:3], 0x8
	v_and_b32_e32 v9, 0x3ff, v0
	v_bfe_u32 v2, v0, 10, 10
	v_bfe_u32 v0, v0, 20, 10
	s_waitcnt lgkmcnt(0)
	s_lshr_b32 s0, s0, 16
	s_delay_alu instid0(SALU_CYCLE_1) | instskip(NEXT) | instid1(SALU_CYCLE_1)
	s_mul_i32 s0, s0, s1
	v_mul_lo_u32 v1, s0, v9
	s_and_b32 s0, 1, s8
	s_delay_alu instid0(SALU_CYCLE_1) | instskip(SKIP_1) | instid1(VALU_DEP_1)
	s_cmp_eq_u32 s0, 1
	s_cselect_b32 vcc_lo, -1, 0
	v_mad_u32_u24 v1, v2, s1, v1
	v_mov_b32_e32 v2, s4
	s_mov_b64 s[0:1], src_shared_base
	v_mov_b32_e32 v3, s5
	s_delay_alu instid0(VALU_DEP_3) | instskip(NEXT) | instid1(VALU_DEP_1)
	v_add_lshl_u32 v4, v1, v0, 3
	v_add_nc_u32_e32 v0, 0x1400, v4
	ds_store_b64 v4, v[2:3] offset:5120
	v_dual_mov_b32 v2, s6 :: v_dual_mov_b32 v3, s7
	v_cndmask_b32_e32 v0, s4, v0, vcc_lo
	s_and_b32 vcc_lo, exec_lo, vcc_lo
	s_cselect_b32 s0, s1, s5
	s_delay_alu instid0(SALU_CYCLE_1)
	v_mov_b32_e32 v1, s0
	flat_load_b64 v[0:1], v[0:1]
	s_cbranch_vccnz .LBB27_2
; %bb.1:
	v_dual_mov_b32 v2, s4 :: v_dual_mov_b32 v3, s5
	flat_load_b64 v[2:3], v[2:3] offset:8
.LBB27_2:
	s_waitcnt vmcnt(0) lgkmcnt(0)
	v_cmp_neq_f64_e32 vcc_lo, 0, v[0:1]
	v_cmp_neq_f64_e64 s0, 0, v[2:3]
	s_delay_alu instid0(VALU_DEP_1) | instskip(NEXT) | instid1(SALU_CYCLE_1)
	s_or_b32 s0, vcc_lo, s0
	s_and_saveexec_b32 s1, s0
	s_cbranch_execz .LBB27_44
; %bb.3:
	s_load_b32 s16, s[2:3], 0x0
	s_waitcnt lgkmcnt(0)
	s_cmp_lt_i32 s16, 1
	s_cbranch_scc1 .LBB27_44
; %bb.4:
	s_clause 0x1
	s_load_b128 s[12:15], s[2:3], 0x18
	s_load_b64 s[10:11], s[2:3], 0x28
	v_lshlrev_b32_e32 v0, 2, v9
	v_lshlrev_b32_e32 v10, 4, v9
	v_cmp_ne_u32_e32 vcc_lo, 0, v9
	v_cmp_lt_u32_e64 s0, 1, v9
	v_cmp_lt_u32_e64 s1, 3, v9
	v_or_b32_e32 v11, 0x1000, v0
	v_add_nc_u32_e32 v12, 0xffc, v0
	v_dual_mov_b32 v8, 0 :: v_dual_add_nc_u32 v13, -16, v10
	v_add_nc_u32_e32 v14, 0xff8, v0
	v_subrev_nc_u32_e32 v15, 32, v10
	v_add_nc_u32_e32 v16, 0xff0, v0
	v_subrev_nc_u32_e32 v17, 64, v10
	v_cmp_lt_u32_e64 s2, 7, v9
	v_add_nc_u32_e32 v18, 0xfe0, v0
	v_add_nc_u32_e32 v19, 0xffffff80, v10
	v_cmp_lt_u32_e64 s3, 15, v9
	v_add_nc_u32_e32 v20, 0xfc0, v0
	v_add_nc_u32_e32 v21, 0xffffff00, v10
	;; [unrolled: 3-line block ×5, first 2 shown]
	v_cmp_gt_u32_e64 s7, 0xff, v9
	s_mov_b32 s17, 0
	s_branch .LBB27_6
.LBB27_5:                               ;   in Loop: Header=BB27_6 Depth=1
	s_or_b32 exec_lo, exec_lo, s9
	s_addk_i32 s17, 0x100
	s_waitcnt_vscnt null, 0x0
	s_cmp_lt_i32 s17, s16
	s_barrier
	buffer_gl0_inv
	s_cbranch_scc0 .LBB27_44
.LBB27_6:                               ; =>This Inner Loop Header: Depth=1
	v_mov_b32_e32 v2, 0
	v_dual_mov_b32 v3, 0 :: v_dual_add_nc_u32 v0, s17, v9
	v_mov_b32_e32 v28, -1
	s_mov_b32 s9, exec_lo
	s_delay_alu instid0(VALU_DEP_2)
	v_dual_mov_b32 v7, v3 :: v_dual_mov_b32 v6, v2
	v_dual_mov_b32 v5, v3 :: v_dual_mov_b32 v4, v2
	v_cmpx_gt_i32_e64 s16, v0
	s_cbranch_execz .LBB27_8
; %bb.7:                                ;   in Loop: Header=BB27_6 Depth=1
	v_ashrrev_i32_e32 v1, 31, v0
	s_delay_alu instid0(VALU_DEP_1) | instskip(SKIP_2) | instid1(VALU_DEP_2)
	v_lshlrev_b64 v[4:5], 2, v[0:1]
	v_lshlrev_b64 v[0:1], 4, v[0:1]
	s_waitcnt lgkmcnt(0)
	v_add_co_u32 v4, s8, s12, v4
	s_delay_alu instid0(VALU_DEP_1) | instskip(NEXT) | instid1(VALU_DEP_3)
	v_add_co_ci_u32_e64 v5, s8, s13, v5, s8
	v_add_co_u32 v0, s8, s14, v0
	s_delay_alu instid0(VALU_DEP_1)
	v_add_co_ci_u32_e64 v1, s8, s15, v1, s8
	global_load_b32 v28, v[4:5], off
	global_load_b128 v[4:7], v[0:1], off
.LBB27_8:                               ;   in Loop: Header=BB27_6 Depth=1
	s_or_b32 exec_lo, exec_lo, s9
	v_dual_mov_b32 v0, v2 :: v_dual_mov_b32 v1, v3
	s_waitcnt vmcnt(1)
	ds_store_b32 v11, v28
	s_waitcnt vmcnt(0)
	ds_store_b128 v10, v[4:7]
	s_waitcnt lgkmcnt(0)
	s_barrier
	buffer_gl0_inv
	s_and_saveexec_b32 s9, vcc_lo
	s_cbranch_execz .LBB27_12
; %bb.9:                                ;   in Loop: Header=BB27_6 Depth=1
	ds_load_2addr_b32 v[2:3], v12 offset1:1
	v_mov_b32_e32 v0, 0
	v_mov_b32_e32 v1, 0
	s_waitcnt lgkmcnt(0)
	v_cmp_eq_u32_e64 s8, v3, v2
	s_delay_alu instid0(VALU_DEP_2) | instskip(NEXT) | instid1(VALU_DEP_2)
	v_dual_mov_b32 v3, v1 :: v_dual_mov_b32 v2, v0
	s_and_saveexec_b32 s18, s8
	s_cbranch_execz .LBB27_11
; %bb.10:                               ;   in Loop: Header=BB27_6 Depth=1
	ds_load_b128 v[0:3], v13
.LBB27_11:                              ;   in Loop: Header=BB27_6 Depth=1
	s_or_b32 exec_lo, exec_lo, s18
.LBB27_12:                              ;   in Loop: Header=BB27_6 Depth=1
	s_delay_alu instid0(SALU_CYCLE_1)
	s_or_b32 exec_lo, exec_lo, s9
	s_waitcnt lgkmcnt(0)
	s_barrier
	buffer_gl0_inv
	ds_load_b128 v[4:7], v10
	s_waitcnt lgkmcnt(0)
	v_add_f64 v[28:29], v[0:1], v[4:5]
	v_add_f64 v[30:31], v[2:3], v[6:7]
	v_mov_b32_e32 v2, 0
	v_mov_b32_e32 v3, 0
	s_delay_alu instid0(VALU_DEP_1)
	v_dual_mov_b32 v7, v3 :: v_dual_mov_b32 v6, v2
	v_dual_mov_b32 v5, v3 :: v_dual_mov_b32 v4, v2
	ds_store_b128 v10, v[28:31]
	s_waitcnt lgkmcnt(0)
	s_barrier
	buffer_gl0_inv
	s_and_saveexec_b32 s9, s0
	s_cbranch_execz .LBB27_16
; %bb.13:                               ;   in Loop: Header=BB27_6 Depth=1
	ds_load_b32 v0, v11
	ds_load_b32 v1, v14
	v_mov_b32_e32 v4, 0
	v_mov_b32_e32 v5, 0
	s_mov_b32 s18, exec_lo
	s_delay_alu instid0(VALU_DEP_1)
	v_dual_mov_b32 v7, v5 :: v_dual_mov_b32 v6, v4
	s_waitcnt lgkmcnt(0)
	v_cmpx_eq_u32_e64 v0, v1
	s_cbranch_execz .LBB27_15
; %bb.14:                               ;   in Loop: Header=BB27_6 Depth=1
	ds_load_b128 v[4:7], v15
.LBB27_15:                              ;   in Loop: Header=BB27_6 Depth=1
	s_or_b32 exec_lo, exec_lo, s18
.LBB27_16:                              ;   in Loop: Header=BB27_6 Depth=1
	s_delay_alu instid0(SALU_CYCLE_1)
	s_or_b32 exec_lo, exec_lo, s9
	s_waitcnt lgkmcnt(0)
	s_barrier
	buffer_gl0_inv
	ds_load_b128 v[28:31], v10
	v_dual_mov_b32 v0, v2 :: v_dual_mov_b32 v1, v3
	s_waitcnt lgkmcnt(0)
	v_add_f64 v[4:5], v[4:5], v[28:29]
	v_add_f64 v[6:7], v[6:7], v[30:31]
	ds_store_b128 v10, v[4:7]
	s_waitcnt lgkmcnt(0)
	s_barrier
	buffer_gl0_inv
	s_and_saveexec_b32 s9, s1
	s_cbranch_execz .LBB27_20
; %bb.17:                               ;   in Loop: Header=BB27_6 Depth=1
	ds_load_b32 v2, v11
	ds_load_b32 v3, v16
	v_mov_b32_e32 v0, 0
	v_mov_b32_e32 v1, 0
	s_waitcnt lgkmcnt(0)
	v_cmp_eq_u32_e64 s8, v2, v3
	s_delay_alu instid0(VALU_DEP_2) | instskip(NEXT) | instid1(VALU_DEP_2)
	v_dual_mov_b32 v3, v1 :: v_dual_mov_b32 v2, v0
	s_and_saveexec_b32 s18, s8
	s_cbranch_execz .LBB27_19
; %bb.18:                               ;   in Loop: Header=BB27_6 Depth=1
	ds_load_b128 v[0:3], v17
.LBB27_19:                              ;   in Loop: Header=BB27_6 Depth=1
	s_or_b32 exec_lo, exec_lo, s18
.LBB27_20:                              ;   in Loop: Header=BB27_6 Depth=1
	s_delay_alu instid0(SALU_CYCLE_1)
	s_or_b32 exec_lo, exec_lo, s9
	s_waitcnt lgkmcnt(0)
	s_barrier
	buffer_gl0_inv
	ds_load_b128 v[4:7], v10
	s_waitcnt lgkmcnt(0)
	v_add_f64 v[28:29], v[0:1], v[4:5]
	v_add_f64 v[30:31], v[2:3], v[6:7]
	v_mov_b32_e32 v2, 0
	v_mov_b32_e32 v3, 0
	s_delay_alu instid0(VALU_DEP_1)
	v_dual_mov_b32 v7, v3 :: v_dual_mov_b32 v6, v2
	v_dual_mov_b32 v5, v3 :: v_dual_mov_b32 v4, v2
	ds_store_b128 v10, v[28:31]
	s_waitcnt lgkmcnt(0)
	s_barrier
	buffer_gl0_inv
	s_and_saveexec_b32 s9, s2
	s_cbranch_execz .LBB27_24
; %bb.21:                               ;   in Loop: Header=BB27_6 Depth=1
	ds_load_b32 v0, v11
	ds_load_b32 v1, v18
	v_mov_b32_e32 v4, 0
	v_mov_b32_e32 v5, 0
	s_mov_b32 s18, exec_lo
	s_delay_alu instid0(VALU_DEP_1)
	v_dual_mov_b32 v7, v5 :: v_dual_mov_b32 v6, v4
	s_waitcnt lgkmcnt(0)
	v_cmpx_eq_u32_e64 v0, v1
	s_cbranch_execz .LBB27_23
; %bb.22:                               ;   in Loop: Header=BB27_6 Depth=1
	ds_load_b128 v[4:7], v19
.LBB27_23:                              ;   in Loop: Header=BB27_6 Depth=1
	s_or_b32 exec_lo, exec_lo, s18
.LBB27_24:                              ;   in Loop: Header=BB27_6 Depth=1
	s_delay_alu instid0(SALU_CYCLE_1)
	s_or_b32 exec_lo, exec_lo, s9
	s_waitcnt lgkmcnt(0)
	s_barrier
	buffer_gl0_inv
	ds_load_b128 v[28:31], v10
	v_dual_mov_b32 v0, v2 :: v_dual_mov_b32 v1, v3
	s_waitcnt lgkmcnt(0)
	v_add_f64 v[4:5], v[4:5], v[28:29]
	v_add_f64 v[6:7], v[6:7], v[30:31]
	ds_store_b128 v10, v[4:7]
	s_waitcnt lgkmcnt(0)
	s_barrier
	buffer_gl0_inv
	s_and_saveexec_b32 s9, s3
	s_cbranch_execz .LBB27_28
; %bb.25:                               ;   in Loop: Header=BB27_6 Depth=1
	ds_load_b32 v2, v11
	ds_load_b32 v3, v20
	v_mov_b32_e32 v0, 0
	v_mov_b32_e32 v1, 0
	s_waitcnt lgkmcnt(0)
	v_cmp_eq_u32_e64 s8, v2, v3
	s_delay_alu instid0(VALU_DEP_2) | instskip(NEXT) | instid1(VALU_DEP_2)
	v_dual_mov_b32 v3, v1 :: v_dual_mov_b32 v2, v0
	s_and_saveexec_b32 s18, s8
	s_cbranch_execz .LBB27_27
; %bb.26:                               ;   in Loop: Header=BB27_6 Depth=1
	ds_load_b128 v[0:3], v21
.LBB27_27:                              ;   in Loop: Header=BB27_6 Depth=1
	s_or_b32 exec_lo, exec_lo, s18
.LBB27_28:                              ;   in Loop: Header=BB27_6 Depth=1
	s_delay_alu instid0(SALU_CYCLE_1)
	s_or_b32 exec_lo, exec_lo, s9
	s_waitcnt lgkmcnt(0)
	s_barrier
	buffer_gl0_inv
	ds_load_b128 v[4:7], v10
	s_waitcnt lgkmcnt(0)
	v_add_f64 v[28:29], v[0:1], v[4:5]
	v_add_f64 v[30:31], v[2:3], v[6:7]
	v_mov_b32_e32 v2, 0
	v_mov_b32_e32 v3, 0
	s_delay_alu instid0(VALU_DEP_1)
	v_dual_mov_b32 v7, v3 :: v_dual_mov_b32 v6, v2
	v_dual_mov_b32 v5, v3 :: v_dual_mov_b32 v4, v2
	ds_store_b128 v10, v[28:31]
	s_waitcnt lgkmcnt(0)
	s_barrier
	buffer_gl0_inv
	s_and_saveexec_b32 s9, s4
	s_cbranch_execz .LBB27_32
; %bb.29:                               ;   in Loop: Header=BB27_6 Depth=1
	ds_load_b32 v0, v11
	ds_load_b32 v1, v22
	v_mov_b32_e32 v4, 0
	v_mov_b32_e32 v5, 0
	s_mov_b32 s18, exec_lo
	s_delay_alu instid0(VALU_DEP_1)
	v_dual_mov_b32 v7, v5 :: v_dual_mov_b32 v6, v4
	s_waitcnt lgkmcnt(0)
	v_cmpx_eq_u32_e64 v0, v1
	s_cbranch_execz .LBB27_31
; %bb.30:                               ;   in Loop: Header=BB27_6 Depth=1
	ds_load_b128 v[4:7], v23
.LBB27_31:                              ;   in Loop: Header=BB27_6 Depth=1
	s_or_b32 exec_lo, exec_lo, s18
.LBB27_32:                              ;   in Loop: Header=BB27_6 Depth=1
	s_delay_alu instid0(SALU_CYCLE_1)
	s_or_b32 exec_lo, exec_lo, s9
	s_waitcnt lgkmcnt(0)
	s_barrier
	buffer_gl0_inv
	ds_load_b128 v[28:31], v10
	v_dual_mov_b32 v0, v2 :: v_dual_mov_b32 v1, v3
	s_waitcnt lgkmcnt(0)
	v_add_f64 v[4:5], v[4:5], v[28:29]
	v_add_f64 v[6:7], v[6:7], v[30:31]
	ds_store_b128 v10, v[4:7]
	s_waitcnt lgkmcnt(0)
	s_barrier
	buffer_gl0_inv
	s_and_saveexec_b32 s9, s5
	s_cbranch_execz .LBB27_36
; %bb.33:                               ;   in Loop: Header=BB27_6 Depth=1
	ds_load_b32 v2, v11
	ds_load_b32 v3, v24
	v_mov_b32_e32 v0, 0
	v_mov_b32_e32 v1, 0
	s_waitcnt lgkmcnt(0)
	v_cmp_eq_u32_e64 s8, v2, v3
	s_delay_alu instid0(VALU_DEP_2) | instskip(NEXT) | instid1(VALU_DEP_2)
	v_dual_mov_b32 v3, v1 :: v_dual_mov_b32 v2, v0
	s_and_saveexec_b32 s18, s8
	s_cbranch_execz .LBB27_35
; %bb.34:                               ;   in Loop: Header=BB27_6 Depth=1
	ds_load_b128 v[0:3], v25
.LBB27_35:                              ;   in Loop: Header=BB27_6 Depth=1
	s_or_b32 exec_lo, exec_lo, s18
.LBB27_36:                              ;   in Loop: Header=BB27_6 Depth=1
	s_delay_alu instid0(SALU_CYCLE_1)
	s_or_b32 exec_lo, exec_lo, s9
	s_waitcnt lgkmcnt(0)
	s_barrier
	buffer_gl0_inv
	ds_load_b128 v[4:7], v10
	s_waitcnt lgkmcnt(0)
	v_add_f64 v[4:5], v[0:1], v[4:5]
	v_add_f64 v[6:7], v[2:3], v[6:7]
	v_mov_b32_e32 v2, 0
	v_mov_b32_e32 v3, 0
	s_delay_alu instid0(VALU_DEP_1)
	v_dual_mov_b32 v0, v2 :: v_dual_mov_b32 v1, v3
	ds_store_b128 v10, v[4:7]
	s_waitcnt lgkmcnt(0)
	s_barrier
	buffer_gl0_inv
	s_and_saveexec_b32 s9, s6
	s_cbranch_execz .LBB27_40
; %bb.37:                               ;   in Loop: Header=BB27_6 Depth=1
	ds_load_b32 v2, v11
	ds_load_b32 v3, v26
	v_mov_b32_e32 v0, 0
	v_mov_b32_e32 v1, 0
	s_waitcnt lgkmcnt(0)
	v_cmp_eq_u32_e64 s8, v2, v3
	s_delay_alu instid0(VALU_DEP_2) | instskip(NEXT) | instid1(VALU_DEP_2)
	v_dual_mov_b32 v3, v1 :: v_dual_mov_b32 v2, v0
	s_and_saveexec_b32 s18, s8
	s_cbranch_execz .LBB27_39
; %bb.38:                               ;   in Loop: Header=BB27_6 Depth=1
	ds_load_b128 v[0:3], v27
.LBB27_39:                              ;   in Loop: Header=BB27_6 Depth=1
	s_or_b32 exec_lo, exec_lo, s18
.LBB27_40:                              ;   in Loop: Header=BB27_6 Depth=1
	s_delay_alu instid0(SALU_CYCLE_1)
	s_or_b32 exec_lo, exec_lo, s9
	s_waitcnt lgkmcnt(0)
	s_barrier
	buffer_gl0_inv
	ds_load_b128 v[4:7], v10
	s_waitcnt lgkmcnt(0)
	v_add_f64 v[0:1], v[0:1], v[4:5]
	v_add_f64 v[2:3], v[2:3], v[6:7]
	ds_store_b128 v10, v[0:3]
	s_waitcnt lgkmcnt(0)
	s_barrier
	buffer_gl0_inv
	ds_load_b32 v7, v11
	v_mov_b32_e32 v0, -1
	s_and_saveexec_b32 s8, s7
	s_cbranch_execz .LBB27_42
; %bb.41:                               ;   in Loop: Header=BB27_6 Depth=1
	ds_load_b32 v0, v11 offset:4
.LBB27_42:                              ;   in Loop: Header=BB27_6 Depth=1
	s_or_b32 exec_lo, exec_lo, s8
	s_waitcnt lgkmcnt(0)
	v_cmp_ne_u32_e64 s8, v7, v0
	v_cmp_lt_i32_e64 s9, -1, v7
	s_delay_alu instid0(VALU_DEP_1) | instskip(NEXT) | instid1(SALU_CYCLE_1)
	s_and_b32 s8, s9, s8
	s_and_saveexec_b32 s9, s8
	s_cbranch_execz .LBB27_5
; %bb.43:                               ;   in Loop: Header=BB27_6 Depth=1
	v_lshlrev_b64 v[0:1], 4, v[7:8]
	ds_load_b128 v[4:7], v10
	v_add_co_u32 v28, s8, s10, v0
	s_delay_alu instid0(VALU_DEP_1)
	v_add_co_ci_u32_e64 v29, s8, s11, v1, s8
	global_load_b128 v[0:3], v[28:29], off
	s_waitcnt vmcnt(0) lgkmcnt(0)
	v_add_f64 v[0:1], v[4:5], v[0:1]
	v_add_f64 v[2:3], v[6:7], v[2:3]
	global_store_b128 v[28:29], v[0:3], off
	s_branch .LBB27_5
.LBB27_44:
	s_endpgm
	.section	.rodata,"a",@progbits
	.p2align	6, 0x0
	.amdhsa_kernel _ZN9rocsparseL29coomvn_segmented_loops_reduceILj256Ei21rocsparse_complex_numIdES2_EEvT0_NS_24const_host_device_scalarIT2_EEPKS3_PKS5_PT1_b
		.amdhsa_group_segment_fixed_size 7168
		.amdhsa_private_segment_fixed_size 0
		.amdhsa_kernarg_size 52
		.amdhsa_user_sgpr_count 15
		.amdhsa_user_sgpr_dispatch_ptr 1
		.amdhsa_user_sgpr_queue_ptr 0
		.amdhsa_user_sgpr_kernarg_segment_ptr 1
		.amdhsa_user_sgpr_dispatch_id 0
		.amdhsa_user_sgpr_private_segment_size 0
		.amdhsa_wavefront_size32 1
		.amdhsa_uses_dynamic_stack 0
		.amdhsa_enable_private_segment 0
		.amdhsa_system_sgpr_workgroup_id_x 1
		.amdhsa_system_sgpr_workgroup_id_y 0
		.amdhsa_system_sgpr_workgroup_id_z 0
		.amdhsa_system_sgpr_workgroup_info 0
		.amdhsa_system_vgpr_workitem_id 2
		.amdhsa_next_free_vgpr 32
		.amdhsa_next_free_sgpr 19
		.amdhsa_reserve_vcc 1
		.amdhsa_float_round_mode_32 0
		.amdhsa_float_round_mode_16_64 0
		.amdhsa_float_denorm_mode_32 3
		.amdhsa_float_denorm_mode_16_64 3
		.amdhsa_dx10_clamp 1
		.amdhsa_ieee_mode 1
		.amdhsa_fp16_overflow 0
		.amdhsa_workgroup_processor_mode 1
		.amdhsa_memory_ordered 1
		.amdhsa_forward_progress 0
		.amdhsa_shared_vgpr_count 0
		.amdhsa_exception_fp_ieee_invalid_op 0
		.amdhsa_exception_fp_denorm_src 0
		.amdhsa_exception_fp_ieee_div_zero 0
		.amdhsa_exception_fp_ieee_overflow 0
		.amdhsa_exception_fp_ieee_underflow 0
		.amdhsa_exception_fp_ieee_inexact 0
		.amdhsa_exception_int_div_zero 0
	.end_amdhsa_kernel
	.section	.text._ZN9rocsparseL29coomvn_segmented_loops_reduceILj256Ei21rocsparse_complex_numIdES2_EEvT0_NS_24const_host_device_scalarIT2_EEPKS3_PKS5_PT1_b,"axG",@progbits,_ZN9rocsparseL29coomvn_segmented_loops_reduceILj256Ei21rocsparse_complex_numIdES2_EEvT0_NS_24const_host_device_scalarIT2_EEPKS3_PKS5_PT1_b,comdat
.Lfunc_end27:
	.size	_ZN9rocsparseL29coomvn_segmented_loops_reduceILj256Ei21rocsparse_complex_numIdES2_EEvT0_NS_24const_host_device_scalarIT2_EEPKS3_PKS5_PT1_b, .Lfunc_end27-_ZN9rocsparseL29coomvn_segmented_loops_reduceILj256Ei21rocsparse_complex_numIdES2_EEvT0_NS_24const_host_device_scalarIT2_EEPKS3_PKS5_PT1_b
                                        ; -- End function
	.section	.AMDGPU.csdata,"",@progbits
; Kernel info:
; codeLenInByte = 2192
; NumSgprs: 21
; NumVgprs: 32
; ScratchSize: 0
; MemoryBound: 0
; FloatMode: 240
; IeeeMode: 1
; LDSByteSize: 7168 bytes/workgroup (compile time only)
; SGPRBlocks: 2
; VGPRBlocks: 3
; NumSGPRsForWavesPerEU: 21
; NumVGPRsForWavesPerEU: 32
; Occupancy: 16
; WaveLimiterHint : 0
; COMPUTE_PGM_RSRC2:SCRATCH_EN: 0
; COMPUTE_PGM_RSRC2:USER_SGPR: 15
; COMPUTE_PGM_RSRC2:TRAP_HANDLER: 0
; COMPUTE_PGM_RSRC2:TGID_X_EN: 1
; COMPUTE_PGM_RSRC2:TGID_Y_EN: 0
; COMPUTE_PGM_RSRC2:TGID_Z_EN: 0
; COMPUTE_PGM_RSRC2:TIDIG_COMP_CNT: 2
	.section	.text._ZN9rocsparseL23coomvn_aos_atomic_loopsILj256ELj1El21rocsparse_complex_numIdES2_S2_S2_EEvlNS_24const_host_device_scalarIT5_EEPKT1_PKT2_PKT3_PT4_21rocsparse_index_base_b,"axG",@progbits,_ZN9rocsparseL23coomvn_aos_atomic_loopsILj256ELj1El21rocsparse_complex_numIdES2_S2_S2_EEvlNS_24const_host_device_scalarIT5_EEPKT1_PKT2_PKT3_PT4_21rocsparse_index_base_b,comdat
	.globl	_ZN9rocsparseL23coomvn_aos_atomic_loopsILj256ELj1El21rocsparse_complex_numIdES2_S2_S2_EEvlNS_24const_host_device_scalarIT5_EEPKT1_PKT2_PKT3_PT4_21rocsparse_index_base_b ; -- Begin function _ZN9rocsparseL23coomvn_aos_atomic_loopsILj256ELj1El21rocsparse_complex_numIdES2_S2_S2_EEvlNS_24const_host_device_scalarIT5_EEPKT1_PKT2_PKT3_PT4_21rocsparse_index_base_b
	.p2align	8
	.type	_ZN9rocsparseL23coomvn_aos_atomic_loopsILj256ELj1El21rocsparse_complex_numIdES2_S2_S2_EEvlNS_24const_host_device_scalarIT5_EEPKT1_PKT2_PKT3_PT4_21rocsparse_index_base_b,@function
_ZN9rocsparseL23coomvn_aos_atomic_loopsILj256ELj1El21rocsparse_complex_numIdES2_S2_S2_EEvlNS_24const_host_device_scalarIT5_EEPKT1_PKT2_PKT3_PT4_21rocsparse_index_base_b: ; @_ZN9rocsparseL23coomvn_aos_atomic_loopsILj256ELj1El21rocsparse_complex_numIdES2_S2_S2_EEvlNS_24const_host_device_scalarIT5_EEPKT1_PKT2_PKT3_PT4_21rocsparse_index_base_b
; %bb.0:
	s_load_b64 s[0:1], s[0:1], 0x4
	s_clause 0x1
	s_load_b128 s[4:7], s[2:3], 0x0
	s_load_b64 s[10:11], s[2:3], 0x10
	v_and_b32_e32 v18, 0x3ff, v0
	s_load_b64 s[8:9], s[2:3], 0x38
	v_bfe_u32 v2, v0, 10, 10
	v_bfe_u32 v0, v0, 20, 10
	s_waitcnt lgkmcnt(0)
	s_lshr_b32 s0, s0, 16
	v_mov_b32_e32 v10, s10
	s_mul_i32 s0, s0, s1
	s_and_b32 s9, 1, s9
	v_mul_lo_u32 v1, s0, v18
	s_cmp_eq_u32 s9, 1
	v_mov_b32_e32 v11, s11
	s_cselect_b32 vcc_lo, -1, 0
	s_delay_alu instid0(VALU_DEP_2) | instskip(SKIP_2) | instid1(VALU_DEP_2)
	v_mad_u32_u24 v1, v2, s1, v1
	s_mov_b64 s[0:1], src_shared_base
	v_dual_mov_b32 v2, s6 :: v_dual_mov_b32 v3, s7
	v_add_lshl_u32 v4, v1, v0, 3
	s_delay_alu instid0(VALU_DEP_1) | instskip(SKIP_4) | instid1(SALU_CYCLE_1)
	v_add_nc_u32_e32 v0, 0x1800, v4
	ds_store_b64 v4, v[2:3] offset:6144
	v_cndmask_b32_e32 v0, s6, v0, vcc_lo
	s_and_b32 vcc_lo, exec_lo, vcc_lo
	s_cselect_b32 s0, s1, s7
	v_mov_b32_e32 v1, s0
	flat_load_b64 v[8:9], v[0:1]
	s_cbranch_vccnz .LBB28_2
; %bb.1:
	v_dual_mov_b32 v0, s6 :: v_dual_mov_b32 v1, s7
	flat_load_b64 v[10:11], v[0:1] offset:8
.LBB28_2:
	s_waitcnt vmcnt(0) lgkmcnt(0)
	v_cmp_neq_f64_e32 vcc_lo, 0, v[8:9]
	v_cmp_neq_f64_e64 s0, 0, v[10:11]
	s_delay_alu instid0(VALU_DEP_1) | instskip(NEXT) | instid1(SALU_CYCLE_1)
	s_or_b32 s0, vcc_lo, s0
	s_and_saveexec_b32 s1, s0
	s_cbranch_execz .LBB28_48
; %bb.3:
	v_dual_mov_b32 v5, 0 :: v_dual_mov_b32 v0, 0
	v_dual_mov_b32 v1, 0 :: v_dual_mov_b32 v12, -1
	v_lshl_or_b32 v4, s15, 8, v18
	v_mov_b32_e32 v13, -1
	s_mov_b32 s0, exec_lo
	s_delay_alu instid0(VALU_DEP_3) | instskip(NEXT) | instid1(VALU_DEP_3)
	v_dual_mov_b32 v3, v1 :: v_dual_mov_b32 v2, v0
	v_cmpx_gt_i64_e64 s[4:5], v[4:5]
	s_cbranch_execz .LBB28_5
; %bb.4:
	s_clause 0x1
	s_load_b128 s[4:7], s[2:3], 0x18
	s_load_b64 s[10:11], s[2:3], 0x28
	v_lshlrev_b64 v[0:1], 4, v[4:5]
	s_waitcnt lgkmcnt(0)
	s_delay_alu instid0(VALU_DEP_1) | instskip(NEXT) | instid1(VALU_DEP_2)
	v_add_co_u32 v2, vcc_lo, s4, v0
	v_add_co_ci_u32_e32 v3, vcc_lo, s5, v1, vcc_lo
	global_load_b128 v[4:7], v[2:3], off slc dlc
	s_waitcnt vmcnt(0)
	v_sub_co_u32 v2, vcc_lo, v6, s8
	v_subrev_co_ci_u32_e32 v3, vcc_lo, 0, v7, vcc_lo
	v_add_co_u32 v0, vcc_lo, s6, v0
	v_add_co_ci_u32_e32 v1, vcc_lo, s7, v1, vcc_lo
	s_delay_alu instid0(VALU_DEP_3) | instskip(NEXT) | instid1(VALU_DEP_1)
	v_lshlrev_b64 v[2:3], 4, v[2:3]
	v_add_co_u32 v6, vcc_lo, s10, v2
	s_delay_alu instid0(VALU_DEP_2)
	v_add_co_ci_u32_e32 v7, vcc_lo, s11, v3, vcc_lo
	global_load_b128 v[0:3], v[0:1], off slc dlc
	global_load_b128 v[12:15], v[6:7], off
	s_waitcnt vmcnt(0)
	v_mul_f64 v[6:7], v[14:15], -v[2:3]
	v_mul_f64 v[14:15], v[0:1], v[14:15]
	s_delay_alu instid0(VALU_DEP_2) | instskip(NEXT) | instid1(VALU_DEP_2)
	v_fma_f64 v[0:1], v[0:1], v[12:13], v[6:7]
	v_fma_f64 v[2:3], v[2:3], v[12:13], v[14:15]
	v_sub_co_u32 v12, vcc_lo, v4, s8
	v_subrev_co_ci_u32_e32 v13, vcc_lo, 0, v5, vcc_lo
.LBB28_5:
	s_or_b32 exec_lo, exec_lo, s0
	v_lshlrev_b32_e32 v6, 3, v18
	v_lshlrev_b32_e32 v4, 4, v18
	s_mov_b32 s0, exec_lo
	ds_store_b64 v6, v[12:13] offset:4096
	ds_store_b128 v4, v[0:3]
	v_or_b32_e32 v5, 0x1000, v6
	s_waitcnt lgkmcnt(0)
	s_barrier
	buffer_gl0_inv
	v_cmpx_ne_u32_e32 0, v18
	s_cbranch_execz .LBB28_9
; %bb.6:
	v_add_nc_u32_e32 v6, -8, v5
	s_mov_b32 s1, exec_lo
	ds_load_b64 v[6:7], v6
	s_waitcnt lgkmcnt(0)
	v_cmpx_eq_u64_e64 v[12:13], v[6:7]
	s_cbranch_execz .LBB28_8
; %bb.7:
	v_add_nc_u32_e32 v6, -16, v4
	ds_load_b128 v[14:17], v6
	s_waitcnt lgkmcnt(0)
	v_add_f64 v[0:1], v[0:1], v[14:15]
	v_add_f64 v[2:3], v[2:3], v[16:17]
.LBB28_8:
	s_or_b32 exec_lo, exec_lo, s1
.LBB28_9:
	s_delay_alu instid0(SALU_CYCLE_1) | instskip(NEXT) | instid1(SALU_CYCLE_1)
	s_or_b32 exec_lo, exec_lo, s0
	s_mov_b32 s0, exec_lo
	s_barrier
	buffer_gl0_inv
	ds_store_b128 v4, v[0:3]
	s_waitcnt lgkmcnt(0)
	s_barrier
	buffer_gl0_inv
	v_cmpx_lt_u32_e32 1, v18
	s_cbranch_execz .LBB28_13
; %bb.10:
	v_add_nc_u32_e32 v6, -16, v5
	s_mov_b32 s1, exec_lo
	ds_load_b64 v[6:7], v6
	s_waitcnt lgkmcnt(0)
	v_cmpx_eq_u64_e64 v[12:13], v[6:7]
	s_cbranch_execz .LBB28_12
; %bb.11:
	v_subrev_nc_u32_e32 v6, 32, v4
	ds_load_b128 v[14:17], v6
	s_waitcnt lgkmcnt(0)
	v_add_f64 v[0:1], v[0:1], v[14:15]
	v_add_f64 v[2:3], v[2:3], v[16:17]
.LBB28_12:
	s_or_b32 exec_lo, exec_lo, s1
.LBB28_13:
	s_delay_alu instid0(SALU_CYCLE_1) | instskip(NEXT) | instid1(SALU_CYCLE_1)
	s_or_b32 exec_lo, exec_lo, s0
	s_mov_b32 s0, exec_lo
	s_barrier
	buffer_gl0_inv
	ds_store_b128 v4, v[0:3]
	s_waitcnt lgkmcnt(0)
	s_barrier
	buffer_gl0_inv
	v_cmpx_lt_u32_e32 3, v18
	s_cbranch_execz .LBB28_17
; %bb.14:
	v_subrev_nc_u32_e32 v6, 32, v5
	s_mov_b32 s1, exec_lo
	ds_load_b64 v[6:7], v6
	s_waitcnt lgkmcnt(0)
	v_cmpx_eq_u64_e64 v[12:13], v[6:7]
	s_cbranch_execz .LBB28_16
; %bb.15:
	v_subrev_nc_u32_e32 v6, 64, v4
	ds_load_b128 v[14:17], v6
	s_waitcnt lgkmcnt(0)
	v_add_f64 v[0:1], v[0:1], v[14:15]
	v_add_f64 v[2:3], v[2:3], v[16:17]
.LBB28_16:
	s_or_b32 exec_lo, exec_lo, s1
.LBB28_17:
	s_delay_alu instid0(SALU_CYCLE_1) | instskip(NEXT) | instid1(SALU_CYCLE_1)
	s_or_b32 exec_lo, exec_lo, s0
	s_mov_b32 s0, exec_lo
	s_barrier
	buffer_gl0_inv
	ds_store_b128 v4, v[0:3]
	s_waitcnt lgkmcnt(0)
	s_barrier
	buffer_gl0_inv
	v_cmpx_lt_u32_e32 7, v18
	s_cbranch_execz .LBB28_21
; %bb.18:
	v_subrev_nc_u32_e32 v6, 64, v5
	s_mov_b32 s1, exec_lo
	ds_load_b64 v[6:7], v6
	s_waitcnt lgkmcnt(0)
	v_cmpx_eq_u64_e64 v[12:13], v[6:7]
	s_cbranch_execz .LBB28_20
; %bb.19:
	v_add_nc_u32_e32 v6, 0xffffff80, v4
	ds_load_b128 v[14:17], v6
	s_waitcnt lgkmcnt(0)
	v_add_f64 v[0:1], v[0:1], v[14:15]
	v_add_f64 v[2:3], v[2:3], v[16:17]
.LBB28_20:
	s_or_b32 exec_lo, exec_lo, s1
.LBB28_21:
	s_delay_alu instid0(SALU_CYCLE_1) | instskip(NEXT) | instid1(SALU_CYCLE_1)
	s_or_b32 exec_lo, exec_lo, s0
	s_mov_b32 s0, exec_lo
	s_barrier
	buffer_gl0_inv
	ds_store_b128 v4, v[0:3]
	s_waitcnt lgkmcnt(0)
	s_barrier
	buffer_gl0_inv
	v_cmpx_lt_u32_e32 15, v18
	s_cbranch_execz .LBB28_25
; %bb.22:
	v_add_nc_u32_e32 v6, 0xffffff80, v5
	s_mov_b32 s1, exec_lo
	ds_load_b64 v[6:7], v6
	s_waitcnt lgkmcnt(0)
	v_cmpx_eq_u64_e64 v[12:13], v[6:7]
	s_cbranch_execz .LBB28_24
; %bb.23:
	v_add_nc_u32_e32 v6, 0xffffff00, v4
	ds_load_b128 v[14:17], v6
	s_waitcnt lgkmcnt(0)
	v_add_f64 v[0:1], v[0:1], v[14:15]
	v_add_f64 v[2:3], v[2:3], v[16:17]
.LBB28_24:
	s_or_b32 exec_lo, exec_lo, s1
.LBB28_25:
	s_delay_alu instid0(SALU_CYCLE_1) | instskip(NEXT) | instid1(SALU_CYCLE_1)
	s_or_b32 exec_lo, exec_lo, s0
	s_mov_b32 s0, exec_lo
	s_barrier
	buffer_gl0_inv
	ds_store_b128 v4, v[0:3]
	s_waitcnt lgkmcnt(0)
	s_barrier
	buffer_gl0_inv
	v_cmpx_lt_u32_e32 31, v18
	s_cbranch_execz .LBB28_29
; %bb.26:
	v_add_nc_u32_e32 v6, 0xffffff00, v5
	s_mov_b32 s1, exec_lo
	ds_load_b64 v[6:7], v6
	s_waitcnt lgkmcnt(0)
	v_cmpx_eq_u64_e64 v[12:13], v[6:7]
	s_cbranch_execz .LBB28_28
; %bb.27:
	v_add_nc_u32_e32 v6, 0xfffffe00, v4
	ds_load_b128 v[14:17], v6
	s_waitcnt lgkmcnt(0)
	v_add_f64 v[0:1], v[0:1], v[14:15]
	v_add_f64 v[2:3], v[2:3], v[16:17]
.LBB28_28:
	s_or_b32 exec_lo, exec_lo, s1
.LBB28_29:
	;; [unrolled: 27-line block ×3, first 2 shown]
	s_delay_alu instid0(SALU_CYCLE_1)
	s_or_b32 exec_lo, exec_lo, s0
	s_load_b64 s[2:3], s[2:3], 0x30
	s_mov_b32 s0, exec_lo
	s_waitcnt lgkmcnt(0)
	s_barrier
	buffer_gl0_inv
	ds_store_b128 v4, v[0:3]
	s_waitcnt lgkmcnt(0)
	s_barrier
	buffer_gl0_inv
	v_cmpx_lt_u32_e32 0x7f, v18
	s_cbranch_execz .LBB28_37
; %bb.34:
	v_add_nc_u32_e32 v6, 0xfffffc00, v5
	s_mov_b32 s1, exec_lo
	ds_load_b64 v[6:7], v6
	s_waitcnt lgkmcnt(0)
	v_cmpx_eq_u64_e64 v[12:13], v[6:7]
	s_cbranch_execz .LBB28_36
; %bb.35:
	v_add_nc_u32_e32 v6, 0xfffff800, v4
	ds_load_b128 v[14:17], v6
	s_waitcnt lgkmcnt(0)
	v_add_f64 v[0:1], v[0:1], v[14:15]
	v_add_f64 v[2:3], v[2:3], v[16:17]
.LBB28_36:
	s_or_b32 exec_lo, exec_lo, s1
.LBB28_37:
	s_delay_alu instid0(SALU_CYCLE_1) | instskip(NEXT) | instid1(SALU_CYCLE_1)
	s_or_b32 exec_lo, exec_lo, s0
	s_mov_b32 s1, exec_lo
	s_barrier
	buffer_gl0_inv
	ds_store_b128 v4, v[0:3]
	s_waitcnt lgkmcnt(0)
	s_barrier
	buffer_gl0_inv
	v_cmpx_gt_u32_e32 0xff, v18
	s_cbranch_execz .LBB28_43
; %bb.38:
	ds_load_b64 v[4:5], v5 offset:8
	v_cmp_lt_i64_e64 s0, -1, v[12:13]
	s_waitcnt lgkmcnt(0)
	v_cmp_ne_u64_e32 vcc_lo, v[12:13], v[4:5]
	s_delay_alu instid0(VALU_DEP_2) | instskip(NEXT) | instid1(SALU_CYCLE_1)
	s_and_b32 s0, s0, vcc_lo
	s_and_b32 exec_lo, exec_lo, s0
	s_cbranch_execz .LBB28_43
; %bb.39:
	v_lshlrev_b64 v[4:5], 4, v[12:13]
	s_mov_b32 s0, 0
	s_delay_alu instid0(VALU_DEP_1) | instskip(NEXT) | instid1(VALU_DEP_2)
	v_add_co_u32 v14, vcc_lo, s2, v4
	v_add_co_ci_u32_e32 v15, vcc_lo, s3, v5, vcc_lo
	v_mul_f64 v[4:5], v[2:3], -v[10:11]
	global_load_b64 v[6:7], v[14:15], off
	v_fma_f64 v[16:17], v[8:9], v[0:1], v[4:5]
.LBB28_40:                              ; =>This Inner Loop Header: Depth=1
	s_waitcnt vmcnt(0)
	s_delay_alu instid0(VALU_DEP_1)
	v_add_f64 v[4:5], v[6:7], v[16:17]
	global_atomic_cmpswap_b64 v[4:5], v[14:15], v[4:7], off glc
	s_waitcnt vmcnt(0)
	v_cmp_eq_u64_e32 vcc_lo, v[4:5], v[6:7]
	v_dual_mov_b32 v7, v5 :: v_dual_mov_b32 v6, v4
	s_or_b32 s0, vcc_lo, s0
	s_delay_alu instid0(SALU_CYCLE_1)
	s_and_not1_b32 exec_lo, exec_lo, s0
	s_cbranch_execnz .LBB28_40
; %bb.41:
	s_or_b32 exec_lo, exec_lo, s0
	global_load_b64 v[6:7], v[14:15], off offset:8
	v_mul_f64 v[4:5], v[8:9], v[2:3]
	s_mov_b32 s0, 0
	s_delay_alu instid0(VALU_DEP_1)
	v_fma_f64 v[16:17], v[10:11], v[0:1], v[4:5]
.LBB28_42:                              ; =>This Inner Loop Header: Depth=1
	s_waitcnt vmcnt(0)
	s_delay_alu instid0(VALU_DEP_1)
	v_add_f64 v[4:5], v[6:7], v[16:17]
	global_atomic_cmpswap_b64 v[4:5], v[14:15], v[4:7], off offset:8 glc
	s_waitcnt vmcnt(0)
	v_cmp_eq_u64_e32 vcc_lo, v[4:5], v[6:7]
	v_dual_mov_b32 v7, v5 :: v_dual_mov_b32 v6, v4
	s_or_b32 s0, vcc_lo, s0
	s_delay_alu instid0(SALU_CYCLE_1)
	s_and_not1_b32 exec_lo, exec_lo, s0
	s_cbranch_execnz .LBB28_42
.LBB28_43:
	s_or_b32 exec_lo, exec_lo, s1
	v_cmp_lt_i64_e32 vcc_lo, -1, v[12:13]
	v_cmp_eq_u32_e64 s0, 0xff, v18
	s_delay_alu instid0(VALU_DEP_1) | instskip(NEXT) | instid1(SALU_CYCLE_1)
	s_and_b32 s0, s0, vcc_lo
	s_and_b32 exec_lo, exec_lo, s0
	s_cbranch_execz .LBB28_48
; %bb.44:
	v_lshlrev_b64 v[4:5], 4, v[12:13]
	s_mov_b32 s0, 0
	s_delay_alu instid0(VALU_DEP_1) | instskip(NEXT) | instid1(VALU_DEP_2)
	v_add_co_u32 v12, vcc_lo, s2, v4
	v_add_co_ci_u32_e32 v13, vcc_lo, s3, v5, vcc_lo
	v_mul_f64 v[4:5], v[2:3], -v[10:11]
	global_load_b64 v[6:7], v[12:13], off
	v_fma_f64 v[14:15], v[8:9], v[0:1], v[4:5]
.LBB28_45:                              ; =>This Inner Loop Header: Depth=1
	s_waitcnt vmcnt(0)
	s_delay_alu instid0(VALU_DEP_1)
	v_add_f64 v[4:5], v[6:7], v[14:15]
	global_atomic_cmpswap_b64 v[4:5], v[12:13], v[4:7], off glc
	s_waitcnt vmcnt(0)
	v_cmp_eq_u64_e32 vcc_lo, v[4:5], v[6:7]
	v_dual_mov_b32 v7, v5 :: v_dual_mov_b32 v6, v4
	s_or_b32 s0, vcc_lo, s0
	s_delay_alu instid0(SALU_CYCLE_1)
	s_and_not1_b32 exec_lo, exec_lo, s0
	s_cbranch_execnz .LBB28_45
; %bb.46:
	s_or_b32 exec_lo, exec_lo, s0
	global_load_b64 v[4:5], v[12:13], off offset:8
	v_mul_f64 v[2:3], v[8:9], v[2:3]
	s_mov_b32 s0, 0
	s_delay_alu instid0(VALU_DEP_1)
	v_fma_f64 v[0:1], v[10:11], v[0:1], v[2:3]
.LBB28_47:                              ; =>This Inner Loop Header: Depth=1
	s_waitcnt vmcnt(0)
	s_delay_alu instid0(VALU_DEP_1)
	v_add_f64 v[2:3], v[4:5], v[0:1]
	global_atomic_cmpswap_b64 v[2:3], v[12:13], v[2:5], off offset:8 glc
	s_waitcnt vmcnt(0)
	v_cmp_eq_u64_e32 vcc_lo, v[2:3], v[4:5]
	v_dual_mov_b32 v5, v3 :: v_dual_mov_b32 v4, v2
	s_or_b32 s0, vcc_lo, s0
	s_delay_alu instid0(SALU_CYCLE_1)
	s_and_not1_b32 exec_lo, exec_lo, s0
	s_cbranch_execnz .LBB28_47
.LBB28_48:
	s_endpgm
	.section	.rodata,"a",@progbits
	.p2align	6, 0x0
	.amdhsa_kernel _ZN9rocsparseL23coomvn_aos_atomic_loopsILj256ELj1El21rocsparse_complex_numIdES2_S2_S2_EEvlNS_24const_host_device_scalarIT5_EEPKT1_PKT2_PKT3_PT4_21rocsparse_index_base_b
		.amdhsa_group_segment_fixed_size 8192
		.amdhsa_private_segment_fixed_size 0
		.amdhsa_kernarg_size 64
		.amdhsa_user_sgpr_count 15
		.amdhsa_user_sgpr_dispatch_ptr 1
		.amdhsa_user_sgpr_queue_ptr 0
		.amdhsa_user_sgpr_kernarg_segment_ptr 1
		.amdhsa_user_sgpr_dispatch_id 0
		.amdhsa_user_sgpr_private_segment_size 0
		.amdhsa_wavefront_size32 1
		.amdhsa_uses_dynamic_stack 0
		.amdhsa_enable_private_segment 0
		.amdhsa_system_sgpr_workgroup_id_x 1
		.amdhsa_system_sgpr_workgroup_id_y 0
		.amdhsa_system_sgpr_workgroup_id_z 0
		.amdhsa_system_sgpr_workgroup_info 0
		.amdhsa_system_vgpr_workitem_id 2
		.amdhsa_next_free_vgpr 19
		.amdhsa_next_free_sgpr 16
		.amdhsa_reserve_vcc 1
		.amdhsa_float_round_mode_32 0
		.amdhsa_float_round_mode_16_64 0
		.amdhsa_float_denorm_mode_32 3
		.amdhsa_float_denorm_mode_16_64 3
		.amdhsa_dx10_clamp 1
		.amdhsa_ieee_mode 1
		.amdhsa_fp16_overflow 0
		.amdhsa_workgroup_processor_mode 1
		.amdhsa_memory_ordered 1
		.amdhsa_forward_progress 0
		.amdhsa_shared_vgpr_count 0
		.amdhsa_exception_fp_ieee_invalid_op 0
		.amdhsa_exception_fp_denorm_src 0
		.amdhsa_exception_fp_ieee_div_zero 0
		.amdhsa_exception_fp_ieee_overflow 0
		.amdhsa_exception_fp_ieee_underflow 0
		.amdhsa_exception_fp_ieee_inexact 0
		.amdhsa_exception_int_div_zero 0
	.end_amdhsa_kernel
	.section	.text._ZN9rocsparseL23coomvn_aos_atomic_loopsILj256ELj1El21rocsparse_complex_numIdES2_S2_S2_EEvlNS_24const_host_device_scalarIT5_EEPKT1_PKT2_PKT3_PT4_21rocsparse_index_base_b,"axG",@progbits,_ZN9rocsparseL23coomvn_aos_atomic_loopsILj256ELj1El21rocsparse_complex_numIdES2_S2_S2_EEvlNS_24const_host_device_scalarIT5_EEPKT1_PKT2_PKT3_PT4_21rocsparse_index_base_b,comdat
.Lfunc_end28:
	.size	_ZN9rocsparseL23coomvn_aos_atomic_loopsILj256ELj1El21rocsparse_complex_numIdES2_S2_S2_EEvlNS_24const_host_device_scalarIT5_EEPKT1_PKT2_PKT3_PT4_21rocsparse_index_base_b, .Lfunc_end28-_ZN9rocsparseL23coomvn_aos_atomic_loopsILj256ELj1El21rocsparse_complex_numIdES2_S2_S2_EEvlNS_24const_host_device_scalarIT5_EEPKT1_PKT2_PKT3_PT4_21rocsparse_index_base_b
                                        ; -- End function
	.section	.AMDGPU.csdata,"",@progbits
; Kernel info:
; codeLenInByte = 2056
; NumSgprs: 18
; NumVgprs: 19
; ScratchSize: 0
; MemoryBound: 1
; FloatMode: 240
; IeeeMode: 1
; LDSByteSize: 8192 bytes/workgroup (compile time only)
; SGPRBlocks: 2
; VGPRBlocks: 2
; NumSGPRsForWavesPerEU: 18
; NumVGPRsForWavesPerEU: 19
; Occupancy: 16
; WaveLimiterHint : 1
; COMPUTE_PGM_RSRC2:SCRATCH_EN: 0
; COMPUTE_PGM_RSRC2:USER_SGPR: 15
; COMPUTE_PGM_RSRC2:TRAP_HANDLER: 0
; COMPUTE_PGM_RSRC2:TGID_X_EN: 1
; COMPUTE_PGM_RSRC2:TGID_Y_EN: 0
; COMPUTE_PGM_RSRC2:TGID_Z_EN: 0
; COMPUTE_PGM_RSRC2:TIDIG_COMP_CNT: 2
	.section	.text._ZN9rocsparseL17coomvt_aos_kernelILj1024El21rocsparse_complex_numIdES2_S2_S2_EEv20rocsparse_operation_lNS_24const_host_device_scalarIT4_EEPKT0_PKT1_PKT2_PT3_21rocsparse_index_base_b,"axG",@progbits,_ZN9rocsparseL17coomvt_aos_kernelILj1024El21rocsparse_complex_numIdES2_S2_S2_EEv20rocsparse_operation_lNS_24const_host_device_scalarIT4_EEPKT0_PKT1_PKT2_PT3_21rocsparse_index_base_b,comdat
	.globl	_ZN9rocsparseL17coomvt_aos_kernelILj1024El21rocsparse_complex_numIdES2_S2_S2_EEv20rocsparse_operation_lNS_24const_host_device_scalarIT4_EEPKT0_PKT1_PKT2_PT3_21rocsparse_index_base_b ; -- Begin function _ZN9rocsparseL17coomvt_aos_kernelILj1024El21rocsparse_complex_numIdES2_S2_S2_EEv20rocsparse_operation_lNS_24const_host_device_scalarIT4_EEPKT0_PKT1_PKT2_PT3_21rocsparse_index_base_b
	.p2align	8
	.type	_ZN9rocsparseL17coomvt_aos_kernelILj1024El21rocsparse_complex_numIdES2_S2_S2_EEv20rocsparse_operation_lNS_24const_host_device_scalarIT4_EEPKT0_PKT1_PKT2_PT3_21rocsparse_index_base_b,@function
_ZN9rocsparseL17coomvt_aos_kernelILj1024El21rocsparse_complex_numIdES2_S2_S2_EEv20rocsparse_operation_lNS_24const_host_device_scalarIT4_EEPKT0_PKT1_PKT2_PT3_21rocsparse_index_base_b: ; @_ZN9rocsparseL17coomvt_aos_kernelILj1024El21rocsparse_complex_numIdES2_S2_S2_EEv20rocsparse_operation_lNS_24const_host_device_scalarIT4_EEPKT0_PKT1_PKT2_PT3_21rocsparse_index_base_b
; %bb.0:
	s_load_b64 s[0:1], s[0:1], 0x4
	s_clause 0x1
	s_load_b64 s[12:13], s[2:3], 0x40
	s_load_b128 s[4:7], s[2:3], 0x8
	v_bfe_u32 v3, v0, 10, 10
	s_waitcnt lgkmcnt(0)
	s_lshr_b32 s0, s0, 16
	s_and_b32 s8, 1, s13
	s_mul_i32 s0, s0, s1
	s_cmp_eq_u32 s8, 1
	s_load_b64 s[8:9], s[2:3], 0x18
	v_dual_mov_b32 v4, s6 :: v_dual_and_b32 v1, 0x3ff, v0
	v_bfe_u32 v0, v0, 20, 10
	s_cselect_b32 vcc_lo, -1, 0
	v_mov_b32_e32 v5, s7
	s_delay_alu instid0(VALU_DEP_3) | instskip(NEXT) | instid1(VALU_DEP_1)
	v_mul_lo_u32 v2, s0, v1
	v_mad_u32_u24 v2, v3, s1, v2
	s_mov_b64 s[0:1], src_shared_base
	s_delay_alu instid0(VALU_DEP_1) | instskip(SKIP_2) | instid1(VALU_DEP_2)
	v_add_lshl_u32 v0, v2, v0, 3
	s_waitcnt lgkmcnt(0)
	v_dual_mov_b32 v8, s8 :: v_dual_mov_b32 v9, s9
	v_cndmask_b32_e32 v2, s6, v0, vcc_lo
	s_and_b32 vcc_lo, vcc_lo, exec_lo
	s_cselect_b32 s0, s1, s7
	ds_store_b64 v0, v[4:5]
	v_mov_b32_e32 v3, s0
	flat_load_b64 v[4:5], v[2:3]
	s_cbranch_vccnz .LBB29_2
; %bb.1:
	v_dual_mov_b32 v2, s6 :: v_dual_mov_b32 v3, s7
	flat_load_b64 v[8:9], v[2:3] offset:8
.LBB29_2:
	s_waitcnt vmcnt(0) lgkmcnt(0)
	v_cmp_neq_f64_e32 vcc_lo, 0, v[4:5]
	v_cmp_neq_f64_e64 s0, 0, v[8:9]
	s_delay_alu instid0(VALU_DEP_1) | instskip(NEXT) | instid1(SALU_CYCLE_1)
	s_or_b32 s0, vcc_lo, s0
	s_and_saveexec_b32 s1, s0
	s_cbranch_execz .LBB29_8
; %bb.3:
	s_load_b32 s0, s[2:3], 0x54
	s_waitcnt lgkmcnt(0)
	s_and_b32 s0, s0, 0xffff
	s_delay_alu instid0(SALU_CYCLE_1) | instskip(SKIP_1) | instid1(VALU_DEP_1)
	v_mad_u64_u32 v[2:3], null, s15, s0, v[1:2]
	v_mov_b32_e32 v3, 0
	v_cmp_gt_i64_e32 vcc_lo, s[4:5], v[2:3]
	s_and_b32 exec_lo, exec_lo, vcc_lo
	s_cbranch_execz .LBB29_8
; %bb.4:
	s_load_b256 s[4:11], s[2:3], 0x20
	v_lshlrev_b64 v[0:1], 4, v[2:3]
	s_load_b32 s0, s[2:3], 0x0
	s_waitcnt lgkmcnt(0)
	s_delay_alu instid0(VALU_DEP_1) | instskip(NEXT) | instid1(VALU_DEP_2)
	v_add_co_u32 v2, vcc_lo, s4, v0
	v_add_co_ci_u32_e32 v3, vcc_lo, s5, v1, vcc_lo
	v_add_co_u32 v0, vcc_lo, s6, v0
	v_add_co_ci_u32_e32 v1, vcc_lo, s7, v1, vcc_lo
	global_load_b128 v[10:13], v[2:3], off
	s_cmpk_eq_i32 s0, 0x71
	s_mov_b32 s0, 0
	global_load_b128 v[14:17], v[0:1], off
	s_waitcnt vmcnt(1)
	v_sub_co_u32 v0, vcc_lo, v10, s12
	v_subrev_co_ci_u32_e32 v1, vcc_lo, 0, v11, vcc_lo
	s_delay_alu instid0(VALU_DEP_1) | instskip(NEXT) | instid1(VALU_DEP_1)
	v_lshlrev_b64 v[0:1], 4, v[0:1]
	v_add_co_u32 v0, vcc_lo, s8, v0
	s_delay_alu instid0(VALU_DEP_2)
	v_add_co_ci_u32_e32 v1, vcc_lo, s9, v1, vcc_lo
	v_sub_co_u32 v6, vcc_lo, v12, s12
	v_subrev_co_ci_u32_e32 v7, vcc_lo, 0, v13, vcc_lo
	global_load_b128 v[0:3], v[0:1], off
	s_waitcnt vmcnt(1)
	v_xor_b32_e32 v12, 0x80000000, v17
	v_lshlrev_b64 v[6:7], 4, v[6:7]
	s_delay_alu instid0(VALU_DEP_1) | instskip(NEXT) | instid1(VALU_DEP_2)
	v_add_co_u32 v10, vcc_lo, s10, v6
	v_add_co_ci_u32_e32 v11, vcc_lo, s11, v7, vcc_lo
	s_cselect_b32 vcc_lo, -1, 0
	v_cndmask_b32_e32 v17, v17, v12, vcc_lo
	global_load_b64 v[6:7], v[10:11], off
	v_mul_f64 v[12:13], v[4:5], v[16:17]
	v_mul_f64 v[16:17], v[16:17], -v[8:9]
	s_delay_alu instid0(VALU_DEP_2) | instskip(NEXT) | instid1(VALU_DEP_2)
	v_fma_f64 v[8:9], v[8:9], v[14:15], v[12:13]
	v_fma_f64 v[12:13], v[4:5], v[14:15], v[16:17]
	s_waitcnt vmcnt(1)
	s_delay_alu instid0(VALU_DEP_2) | instskip(NEXT) | instid1(VALU_DEP_1)
	v_mul_f64 v[4:5], v[2:3], -v[8:9]
	v_fma_f64 v[14:15], v[12:13], v[0:1], v[4:5]
.LBB29_5:                               ; =>This Inner Loop Header: Depth=1
	s_waitcnt vmcnt(0)
	s_delay_alu instid0(VALU_DEP_1)
	v_add_f64 v[4:5], v[6:7], v[14:15]
	global_atomic_cmpswap_b64 v[4:5], v[10:11], v[4:7], off glc
	s_waitcnt vmcnt(0)
	v_cmp_eq_u64_e32 vcc_lo, v[4:5], v[6:7]
	v_dual_mov_b32 v7, v5 :: v_dual_mov_b32 v6, v4
	s_or_b32 s0, vcc_lo, s0
	s_delay_alu instid0(SALU_CYCLE_1)
	s_and_not1_b32 exec_lo, exec_lo, s0
	s_cbranch_execnz .LBB29_5
; %bb.6:
	s_or_b32 exec_lo, exec_lo, s0
	global_load_b64 v[4:5], v[10:11], off offset:8
	v_mul_f64 v[2:3], v[12:13], v[2:3]
	s_mov_b32 s0, 0
	s_delay_alu instid0(VALU_DEP_1)
	v_fma_f64 v[0:1], v[8:9], v[0:1], v[2:3]
.LBB29_7:                               ; =>This Inner Loop Header: Depth=1
	s_waitcnt vmcnt(0)
	s_delay_alu instid0(VALU_DEP_1)
	v_add_f64 v[2:3], v[4:5], v[0:1]
	global_atomic_cmpswap_b64 v[2:3], v[10:11], v[2:5], off offset:8 glc
	s_waitcnt vmcnt(0)
	v_cmp_eq_u64_e32 vcc_lo, v[2:3], v[4:5]
	v_dual_mov_b32 v5, v3 :: v_dual_mov_b32 v4, v2
	s_or_b32 s0, vcc_lo, s0
	s_delay_alu instid0(SALU_CYCLE_1)
	s_and_not1_b32 exec_lo, exec_lo, s0
	s_cbranch_execnz .LBB29_7
.LBB29_8:
	s_endpgm
	.section	.rodata,"a",@progbits
	.p2align	6, 0x0
	.amdhsa_kernel _ZN9rocsparseL17coomvt_aos_kernelILj1024El21rocsparse_complex_numIdES2_S2_S2_EEv20rocsparse_operation_lNS_24const_host_device_scalarIT4_EEPKT0_PKT1_PKT2_PT3_21rocsparse_index_base_b
		.amdhsa_group_segment_fixed_size 8192
		.amdhsa_private_segment_fixed_size 0
		.amdhsa_kernarg_size 328
		.amdhsa_user_sgpr_count 15
		.amdhsa_user_sgpr_dispatch_ptr 1
		.amdhsa_user_sgpr_queue_ptr 0
		.amdhsa_user_sgpr_kernarg_segment_ptr 1
		.amdhsa_user_sgpr_dispatch_id 0
		.amdhsa_user_sgpr_private_segment_size 0
		.amdhsa_wavefront_size32 1
		.amdhsa_uses_dynamic_stack 0
		.amdhsa_enable_private_segment 0
		.amdhsa_system_sgpr_workgroup_id_x 1
		.amdhsa_system_sgpr_workgroup_id_y 0
		.amdhsa_system_sgpr_workgroup_id_z 0
		.amdhsa_system_sgpr_workgroup_info 0
		.amdhsa_system_vgpr_workitem_id 2
		.amdhsa_next_free_vgpr 18
		.amdhsa_next_free_sgpr 16
		.amdhsa_reserve_vcc 1
		.amdhsa_float_round_mode_32 0
		.amdhsa_float_round_mode_16_64 0
		.amdhsa_float_denorm_mode_32 3
		.amdhsa_float_denorm_mode_16_64 3
		.amdhsa_dx10_clamp 1
		.amdhsa_ieee_mode 1
		.amdhsa_fp16_overflow 0
		.amdhsa_workgroup_processor_mode 1
		.amdhsa_memory_ordered 1
		.amdhsa_forward_progress 0
		.amdhsa_shared_vgpr_count 0
		.amdhsa_exception_fp_ieee_invalid_op 0
		.amdhsa_exception_fp_denorm_src 0
		.amdhsa_exception_fp_ieee_div_zero 0
		.amdhsa_exception_fp_ieee_overflow 0
		.amdhsa_exception_fp_ieee_underflow 0
		.amdhsa_exception_fp_ieee_inexact 0
		.amdhsa_exception_int_div_zero 0
	.end_amdhsa_kernel
	.section	.text._ZN9rocsparseL17coomvt_aos_kernelILj1024El21rocsparse_complex_numIdES2_S2_S2_EEv20rocsparse_operation_lNS_24const_host_device_scalarIT4_EEPKT0_PKT1_PKT2_PT3_21rocsparse_index_base_b,"axG",@progbits,_ZN9rocsparseL17coomvt_aos_kernelILj1024El21rocsparse_complex_numIdES2_S2_S2_EEv20rocsparse_operation_lNS_24const_host_device_scalarIT4_EEPKT0_PKT1_PKT2_PT3_21rocsparse_index_base_b,comdat
.Lfunc_end29:
	.size	_ZN9rocsparseL17coomvt_aos_kernelILj1024El21rocsparse_complex_numIdES2_S2_S2_EEv20rocsparse_operation_lNS_24const_host_device_scalarIT4_EEPKT0_PKT1_PKT2_PT3_21rocsparse_index_base_b, .Lfunc_end29-_ZN9rocsparseL17coomvt_aos_kernelILj1024El21rocsparse_complex_numIdES2_S2_S2_EEv20rocsparse_operation_lNS_24const_host_device_scalarIT4_EEPKT0_PKT1_PKT2_PT3_21rocsparse_index_base_b
                                        ; -- End function
	.section	.AMDGPU.csdata,"",@progbits
; Kernel info:
; codeLenInByte = 680
; NumSgprs: 18
; NumVgprs: 18
; ScratchSize: 0
; MemoryBound: 0
; FloatMode: 240
; IeeeMode: 1
; LDSByteSize: 8192 bytes/workgroup (compile time only)
; SGPRBlocks: 2
; VGPRBlocks: 2
; NumSGPRsForWavesPerEU: 18
; NumVGPRsForWavesPerEU: 18
; Occupancy: 16
; WaveLimiterHint : 1
; COMPUTE_PGM_RSRC2:SCRATCH_EN: 0
; COMPUTE_PGM_RSRC2:USER_SGPR: 15
; COMPUTE_PGM_RSRC2:TRAP_HANDLER: 0
; COMPUTE_PGM_RSRC2:TGID_X_EN: 1
; COMPUTE_PGM_RSRC2:TGID_Y_EN: 0
; COMPUTE_PGM_RSRC2:TGID_Z_EN: 0
; COMPUTE_PGM_RSRC2:TIDIG_COMP_CNT: 2
	.section	.text._ZN9rocsparseL26coomvn_aos_segmented_loopsILj256El21rocsparse_complex_numIdES2_S2_S2_EEvlT0_NS_24const_host_device_scalarIT4_EEPKS3_PKT1_PKT2_PT3_PS3_PS5_21rocsparse_index_base_b,"axG",@progbits,_ZN9rocsparseL26coomvn_aos_segmented_loopsILj256El21rocsparse_complex_numIdES2_S2_S2_EEvlT0_NS_24const_host_device_scalarIT4_EEPKS3_PKT1_PKT2_PT3_PS3_PS5_21rocsparse_index_base_b,comdat
	.globl	_ZN9rocsparseL26coomvn_aos_segmented_loopsILj256El21rocsparse_complex_numIdES2_S2_S2_EEvlT0_NS_24const_host_device_scalarIT4_EEPKS3_PKT1_PKT2_PT3_PS3_PS5_21rocsparse_index_base_b ; -- Begin function _ZN9rocsparseL26coomvn_aos_segmented_loopsILj256El21rocsparse_complex_numIdES2_S2_S2_EEvlT0_NS_24const_host_device_scalarIT4_EEPKS3_PKT1_PKT2_PT3_PS3_PS5_21rocsparse_index_base_b
	.p2align	8
	.type	_ZN9rocsparseL26coomvn_aos_segmented_loopsILj256El21rocsparse_complex_numIdES2_S2_S2_EEvlT0_NS_24const_host_device_scalarIT4_EEPKS3_PKT1_PKT2_PT3_PS3_PS5_21rocsparse_index_base_b,@function
_ZN9rocsparseL26coomvn_aos_segmented_loopsILj256El21rocsparse_complex_numIdES2_S2_S2_EEvlT0_NS_24const_host_device_scalarIT4_EEPKS3_PKT1_PKT2_PT3_PS3_PS5_21rocsparse_index_base_b: ; @_ZN9rocsparseL26coomvn_aos_segmented_loopsILj256El21rocsparse_complex_numIdES2_S2_S2_EEvlT0_NS_24const_host_device_scalarIT4_EEPKS3_PKT1_PKT2_PT3_PS3_PS5_21rocsparse_index_base_b
; %bb.0:
	s_load_b64 s[0:1], s[0:1], 0x4
	s_load_b256 s[16:23], s[2:3], 0x0
	v_and_b32_e32 v14, 0x3ff, v0
	s_load_b64 s[26:27], s[2:3], 0x50
	v_bfe_u32 v2, v0, 10, 10
	v_bfe_u32 v0, v0, 20, 10
	s_mov_b32 s24, s15
	s_waitcnt lgkmcnt(0)
	s_lshr_b32 s0, s0, 16
	v_mov_b32_e32 v6, s22
	s_mul_i32 s0, s0, s1
	v_mov_b32_e32 v7, s23
	v_mul_lo_u32 v1, s0, v14
	s_and_b32 s0, 1, s27
	s_delay_alu instid0(SALU_CYCLE_1) | instskip(SKIP_1) | instid1(VALU_DEP_1)
	s_cmp_eq_u32 s0, 1
	s_cselect_b32 vcc_lo, -1, 0
	v_mad_u32_u24 v1, v2, s1, v1
	s_mov_b64 s[0:1], src_shared_base
	v_dual_mov_b32 v2, s20 :: v_dual_mov_b32 v3, s21
	s_delay_alu instid0(VALU_DEP_2) | instskip(NEXT) | instid1(VALU_DEP_1)
	v_add_lshl_u32 v4, v1, v0, 3
	v_add_nc_u32_e32 v0, 0x1800, v4
	ds_store_b64 v4, v[2:3] offset:6144
	v_cndmask_b32_e32 v0, s20, v0, vcc_lo
	s_and_b32 vcc_lo, exec_lo, vcc_lo
	s_cselect_b32 s0, s1, s21
	s_delay_alu instid0(SALU_CYCLE_1)
	v_mov_b32_e32 v1, s0
	flat_load_b64 v[4:5], v[0:1]
	s_cbranch_vccnz .LBB30_2
; %bb.1:
	v_dual_mov_b32 v0, s20 :: v_dual_mov_b32 v1, s21
	flat_load_b64 v[6:7], v[0:1] offset:8
.LBB30_2:
	s_waitcnt vmcnt(0) lgkmcnt(0)
	v_cmp_neq_f64_e32 vcc_lo, 0, v[4:5]
	v_cmp_neq_f64_e64 s0, 0, v[6:7]
	s_delay_alu instid0(VALU_DEP_1) | instskip(NEXT) | instid1(SALU_CYCLE_1)
	s_or_b32 s0, vcc_lo, s0
	s_and_saveexec_b32 s1, s0
	s_cbranch_execz .LBB30_89
; %bb.3:
	s_clause 0x1
	s_load_b128 s[20:23], s[2:3], 0x20
	s_load_b64 s[34:35], s[2:3], 0x30
	s_mul_i32 s0, s24, s19
	s_mul_hi_u32 s1, s24, s18
	s_mov_b32 s25, 0
	s_add_i32 s1, s1, s0
	s_mul_i32 s0, s24, s18
	v_mov_b32_e32 v0, 0
	s_lshl_b64 s[0:1], s[0:1], 8
	v_dual_mov_b32 v1, 0 :: v_dual_mov_b32 v8, -1
	v_mov_b32_e32 v11, s1
	v_or_b32_e32 v10, s0, v14
	v_mov_b32_e32 v9, -1
	s_delay_alu instid0(VALU_DEP_4) | instskip(SKIP_1) | instid1(VALU_DEP_3)
	v_dual_mov_b32 v3, v1 :: v_dual_mov_b32 v2, v0
	s_mov_b32 s0, exec_lo
	v_cmpx_gt_i64_e64 s[16:17], v[10:11]
	s_cbranch_execz .LBB30_5
; %bb.4:
	v_lshlrev_b64 v[0:1], 4, v[10:11]
	s_ashr_i32 s27, s26, 31
	s_delay_alu instid0(SALU_CYCLE_1) | instskip(SKIP_1) | instid1(VALU_DEP_1)
	s_lshl_b64 s[4:5], s[26:27], 4
	s_waitcnt lgkmcnt(0)
	v_add_co_u32 v2, vcc_lo, s20, v0
	s_delay_alu instid0(VALU_DEP_2) | instskip(SKIP_3) | instid1(VALU_DEP_1)
	v_add_co_ci_u32_e32 v3, vcc_lo, s21, v1, vcc_lo
	global_load_b128 v[15:18], v[2:3], off slc dlc
	s_waitcnt vmcnt(0)
	v_lshlrev_b64 v[2:3], 4, v[17:18]
	v_add_co_u32 v2, vcc_lo, s34, v2
	s_delay_alu instid0(VALU_DEP_2) | instskip(SKIP_2) | instid1(VALU_DEP_4)
	v_add_co_ci_u32_e32 v3, vcc_lo, s35, v3, vcc_lo
	v_add_co_u32 v0, vcc_lo, s22, v0
	v_add_co_ci_u32_e32 v1, vcc_lo, s23, v1, vcc_lo
	v_sub_co_u32 v8, vcc_lo, v2, s4
	s_delay_alu instid0(VALU_DEP_4)
	v_subrev_co_ci_u32_e32 v9, vcc_lo, s5, v3, vcc_lo
	global_load_b128 v[0:3], v[0:1], off slc dlc
	global_load_b128 v[17:20], v[8:9], off
	s_waitcnt vmcnt(0)
	v_mul_f64 v[8:9], v[19:20], -v[2:3]
	v_mul_f64 v[12:13], v[0:1], v[19:20]
	s_delay_alu instid0(VALU_DEP_2) | instskip(NEXT) | instid1(VALU_DEP_2)
	v_fma_f64 v[0:1], v[0:1], v[17:18], v[8:9]
	v_fma_f64 v[2:3], v[2:3], v[17:18], v[12:13]
	v_sub_co_u32 v8, vcc_lo, v15, s26
	v_subrev_co_ci_u32_e32 v9, vcc_lo, 0, v16, vcc_lo
.LBB30_5:
	s_or_b32 exec_lo, exec_lo, s0
	v_lshlrev_b32_e32 v12, 3, v14
	v_lshlrev_b32_e32 v16, 4, v14
	v_cmp_eq_u32_e64 s0, 0, v14
	v_cmp_ne_u32_e64 s1, 0, v14
	ds_store_b64 v12, v[8:9] offset:4096
	ds_store_b128 v16, v[0:3]
	v_or_b32_e32 v15, 0x1000, v12
	s_waitcnt lgkmcnt(0)
	s_barrier
	buffer_gl0_inv
	v_add_nc_u32_e32 v17, -8, v15
	s_and_saveexec_b32 s4, s1
	s_cbranch_execz .LBB30_9
; %bb.6:
	ds_load_b64 v[12:13], v17
	s_mov_b32 s5, exec_lo
	s_waitcnt lgkmcnt(0)
	v_cmpx_eq_u64_e64 v[8:9], v[12:13]
	s_cbranch_execz .LBB30_8
; %bb.7:
	v_add_nc_u32_e32 v12, -16, v16
	ds_load_b128 v[18:21], v12
	s_waitcnt lgkmcnt(0)
	v_add_f64 v[0:1], v[0:1], v[18:19]
	v_add_f64 v[2:3], v[2:3], v[20:21]
.LBB30_8:
	s_or_b32 exec_lo, exec_lo, s5
.LBB30_9:
	s_delay_alu instid0(SALU_CYCLE_1)
	s_or_b32 exec_lo, exec_lo, s4
	v_cmp_lt_u32_e64 s4, 1, v14
	v_add_nc_u32_e32 v18, -16, v15
	s_barrier
	buffer_gl0_inv
	ds_store_b128 v16, v[0:3]
	s_waitcnt lgkmcnt(0)
	s_barrier
	buffer_gl0_inv
	s_and_saveexec_b32 s5, s4
	s_cbranch_execz .LBB30_13
; %bb.10:
	ds_load_b64 v[12:13], v18
	s_mov_b32 s6, exec_lo
	s_waitcnt lgkmcnt(0)
	v_cmpx_eq_u64_e64 v[8:9], v[12:13]
	s_cbranch_execz .LBB30_12
; %bb.11:
	v_subrev_nc_u32_e32 v12, 32, v16
	ds_load_b128 v[19:22], v12
	s_waitcnt lgkmcnt(0)
	v_add_f64 v[0:1], v[0:1], v[19:20]
	v_add_f64 v[2:3], v[2:3], v[21:22]
.LBB30_12:
	s_or_b32 exec_lo, exec_lo, s6
.LBB30_13:
	s_delay_alu instid0(SALU_CYCLE_1)
	s_or_b32 exec_lo, exec_lo, s5
	v_cmp_lt_u32_e64 s5, 3, v14
	v_subrev_nc_u32_e32 v19, 32, v15
	s_barrier
	buffer_gl0_inv
	ds_store_b128 v16, v[0:3]
	s_waitcnt lgkmcnt(0)
	s_barrier
	buffer_gl0_inv
	s_and_saveexec_b32 s6, s5
	s_cbranch_execz .LBB30_17
; %bb.14:
	ds_load_b64 v[12:13], v19
	s_mov_b32 s7, exec_lo
	s_waitcnt lgkmcnt(0)
	v_cmpx_eq_u64_e64 v[8:9], v[12:13]
	s_cbranch_execz .LBB30_16
; %bb.15:
	v_subrev_nc_u32_e32 v12, 64, v16
	ds_load_b128 v[20:23], v12
	s_waitcnt lgkmcnt(0)
	v_add_f64 v[0:1], v[0:1], v[20:21]
	v_add_f64 v[2:3], v[2:3], v[22:23]
.LBB30_16:
	s_or_b32 exec_lo, exec_lo, s7
.LBB30_17:
	s_delay_alu instid0(SALU_CYCLE_1)
	s_or_b32 exec_lo, exec_lo, s6
	v_cmp_lt_u32_e64 s6, 7, v14
	v_subrev_nc_u32_e32 v20, 64, v15
	s_barrier
	buffer_gl0_inv
	ds_store_b128 v16, v[0:3]
	s_waitcnt lgkmcnt(0)
	s_barrier
	buffer_gl0_inv
	s_and_saveexec_b32 s7, s6
	s_cbranch_execz .LBB30_21
; %bb.18:
	ds_load_b64 v[12:13], v20
	s_mov_b32 s8, exec_lo
	s_waitcnt lgkmcnt(0)
	v_cmpx_eq_u64_e64 v[8:9], v[12:13]
	s_cbranch_execz .LBB30_20
; %bb.19:
	v_add_nc_u32_e32 v12, 0xffffff80, v16
	ds_load_b128 v[21:24], v12
	s_waitcnt lgkmcnt(0)
	v_add_f64 v[0:1], v[0:1], v[21:22]
	v_add_f64 v[2:3], v[2:3], v[23:24]
.LBB30_20:
	s_or_b32 exec_lo, exec_lo, s8
.LBB30_21:
	s_delay_alu instid0(SALU_CYCLE_1)
	s_or_b32 exec_lo, exec_lo, s7
	v_cmp_lt_u32_e64 s7, 15, v14
	v_add_nc_u32_e32 v21, 0xffffff80, v15
	s_barrier
	buffer_gl0_inv
	ds_store_b128 v16, v[0:3]
	s_waitcnt lgkmcnt(0)
	s_barrier
	buffer_gl0_inv
	s_and_saveexec_b32 s8, s7
	s_cbranch_execz .LBB30_25
; %bb.22:
	ds_load_b64 v[12:13], v21
	s_mov_b32 s9, exec_lo
	s_waitcnt lgkmcnt(0)
	v_cmpx_eq_u64_e64 v[8:9], v[12:13]
	s_cbranch_execz .LBB30_24
; %bb.23:
	v_add_nc_u32_e32 v12, 0xffffff00, v16
	ds_load_b128 v[22:25], v12
	s_waitcnt lgkmcnt(0)
	v_add_f64 v[0:1], v[0:1], v[22:23]
	v_add_f64 v[2:3], v[2:3], v[24:25]
.LBB30_24:
	s_or_b32 exec_lo, exec_lo, s9
.LBB30_25:
	s_delay_alu instid0(SALU_CYCLE_1)
	s_or_b32 exec_lo, exec_lo, s8
	v_cmp_lt_u32_e64 s8, 31, v14
	v_add_nc_u32_e32 v22, 0xffffff00, v15
	;; [unrolled: 27-line block ×3, first 2 shown]
	s_barrier
	buffer_gl0_inv
	ds_store_b128 v16, v[0:3]
	s_waitcnt lgkmcnt(0)
	s_barrier
	buffer_gl0_inv
	s_and_saveexec_b32 s10, s9
	s_cbranch_execz .LBB30_33
; %bb.30:
	ds_load_b64 v[12:13], v23
	s_mov_b32 s11, exec_lo
	s_waitcnt lgkmcnt(0)
	v_cmpx_eq_u64_e64 v[8:9], v[12:13]
	s_cbranch_execz .LBB30_32
; %bb.31:
	v_add_nc_u32_e32 v12, 0xfffffc00, v16
	ds_load_b128 v[24:27], v12
	s_waitcnt lgkmcnt(0)
	v_add_f64 v[0:1], v[0:1], v[24:25]
	v_add_f64 v[2:3], v[2:3], v[26:27]
.LBB30_32:
	s_or_b32 exec_lo, exec_lo, s11
.LBB30_33:
	s_delay_alu instid0(SALU_CYCLE_1)
	s_or_b32 exec_lo, exec_lo, s10
	s_load_b64 s[28:29], s[2:3], 0x38
	v_cmp_lt_u32_e64 s10, 0x7f, v14
	v_add_nc_u32_e32 v24, 0xfffffc00, v15
	s_waitcnt lgkmcnt(0)
	s_barrier
	buffer_gl0_inv
	ds_store_b128 v16, v[0:3]
	s_waitcnt lgkmcnt(0)
	s_barrier
	buffer_gl0_inv
	s_and_saveexec_b32 s11, s10
	s_cbranch_execz .LBB30_37
; %bb.34:
	ds_load_b64 v[12:13], v24
	s_mov_b32 s12, exec_lo
	s_waitcnt lgkmcnt(0)
	v_cmpx_eq_u64_e64 v[8:9], v[12:13]
	s_cbranch_execz .LBB30_36
; %bb.35:
	v_add_nc_u32_e32 v12, 0xfffff800, v16
	ds_load_b128 v[25:28], v12
	s_waitcnt lgkmcnt(0)
	v_add_f64 v[0:1], v[0:1], v[25:26]
	v_add_f64 v[2:3], v[2:3], v[27:28]
.LBB30_36:
	s_or_b32 exec_lo, exec_lo, s12
.LBB30_37:
	s_delay_alu instid0(SALU_CYCLE_1)
	s_or_b32 exec_lo, exec_lo, s11
	v_cmp_gt_u32_e64 s11, 0xff, v14
	s_barrier
	buffer_gl0_inv
	ds_store_b128 v16, v[0:3]
	s_waitcnt lgkmcnt(0)
	s_barrier
	buffer_gl0_inv
	s_and_saveexec_b32 s13, s11
	s_cbranch_execz .LBB30_40
; %bb.38:
	ds_load_b64 v[12:13], v15 offset:8
	v_cmp_lt_i64_e64 s12, -1, v[8:9]
	s_waitcnt lgkmcnt(0)
	v_cmp_ne_u64_e32 vcc_lo, v[8:9], v[12:13]
	s_delay_alu instid0(VALU_DEP_2) | instskip(NEXT) | instid1(SALU_CYCLE_1)
	s_and_b32 s12, s12, vcc_lo
	s_and_b32 exec_lo, exec_lo, s12
	s_cbranch_execz .LBB30_40
; %bb.39:
	v_lshlrev_b64 v[12:13], 4, v[8:9]
	s_delay_alu instid0(VALU_DEP_1) | instskip(NEXT) | instid1(VALU_DEP_2)
	v_add_co_u32 v12, vcc_lo, s28, v12
	v_add_co_ci_u32_e32 v13, vcc_lo, s29, v13, vcc_lo
	global_load_b128 v[25:28], v[12:13], off
	s_waitcnt vmcnt(0)
	v_fma_f64 v[25:26], v[4:5], v[0:1], v[25:26]
	v_fma_f64 v[27:28], v[6:7], v[0:1], v[27:28]
	s_delay_alu instid0(VALU_DEP_2) | instskip(NEXT) | instid1(VALU_DEP_2)
	v_fma_f64 v[25:26], -v[6:7], v[2:3], v[25:26]
	v_fma_f64 v[27:28], v[4:5], v[2:3], v[27:28]
	global_store_b128 v[12:13], v[25:28], off
.LBB30_40:
	s_or_b32 exec_lo, exec_lo, s13
	s_load_b128 s[12:15], s[2:3], 0x40
	v_cmp_lt_i64_e64 s2, s[18:19], 2
	s_delay_alu instid0(VALU_DEP_1)
	s_and_b32 vcc_lo, exec_lo, s2
	s_cbranch_vccnz .LBB30_87
; %bb.41:
	s_add_u32 s30, s18, -1
	s_addc_u32 s31, s19, -1
	s_ashr_i32 s27, s26, 31
	s_mul_i32 s2, s19, s24
	s_lshl_b64 s[36:37], s[26:27], 4
	s_mul_hi_u32 s19, s18, s24
	s_sub_u32 s3, s34, s36
	s_subb_u32 s27, s35, s37
	s_add_i32 s19, s19, s2
	s_mul_i32 s18, s18, s24
	v_add_co_u32 v10, vcc_lo, 0x100, v10
	s_lshl_b64 s[18:19], s[18:19], 12
	v_add_nc_u32_e32 v25, -16, v16
	v_subrev_nc_u32_e32 v26, 32, v16
	v_subrev_nc_u32_e32 v27, 64, v16
	v_dual_mov_b32 v33, 0 :: v_dual_add_nc_u32 v28, 0xffffff80, v16
	v_add_nc_u32_e32 v29, 0xffffff00, v16
	v_add_nc_u32_e32 v30, 0xfffffe00, v16
	;; [unrolled: 1-line block ×4, first 2 shown]
	s_add_u32 s22, s22, s18
	v_add_co_ci_u32_e32 v11, vcc_lo, 0, v11, vcc_lo
	s_addc_u32 s23, s23, s19
	s_add_u32 s20, s20, s18
	s_addc_u32 s21, s21, s19
	s_mov_b64 s[18:19], 0
	s_branch .LBB30_43
.LBB30_42:                              ;   in Loop: Header=BB30_43 Depth=1
	s_or_b32 exec_lo, exec_lo, s33
	s_add_u32 s22, s22, 0x1000
	s_addc_u32 s23, s23, 0
	s_add_u32 s20, s20, 0x1000
	s_addc_u32 s21, s21, 0
	;; [unrolled: 2-line block ×3, first 2 shown]
	v_add_co_u32 v10, vcc_lo, 0x100, v10
	v_cmp_le_u64_e64 s2, s[30:31], s[18:19]
	v_add_co_ci_u32_e32 v11, vcc_lo, 0, v11, vcc_lo
	s_delay_alu instid0(VALU_DEP_2)
	s_and_b32 vcc_lo, exec_lo, s2
	s_cbranch_vccnz .LBB30_87
.LBB30_43:                              ; =>This Inner Loop Header: Depth=1
	v_mov_b32_e32 v0, 0
	v_dual_mov_b32 v1, 0 :: v_dual_mov_b32 v8, -1
	v_mov_b32_e32 v9, -1
	s_mov_b32 s2, exec_lo
	s_delay_alu instid0(VALU_DEP_2)
	v_dual_mov_b32 v3, v1 :: v_dual_mov_b32 v2, v0
	v_cmpx_gt_i64_e64 s[16:17], v[10:11]
	s_cbranch_execz .LBB30_45
; %bb.44:                               ;   in Loop: Header=BB30_43 Depth=1
	v_add_co_u32 v0, s33, s20, v16
	s_delay_alu instid0(VALU_DEP_1) | instskip(SKIP_1) | instid1(VALU_DEP_3)
	v_add_co_ci_u32_e64 v1, null, s21, 0, s33
	v_add_co_u32 v2, s33, s22, v16
	v_add_co_u32 v0, vcc_lo, 0x1000, v0
	s_delay_alu instid0(VALU_DEP_3) | instskip(SKIP_1) | instid1(VALU_DEP_4)
	v_add_co_ci_u32_e32 v1, vcc_lo, 0, v1, vcc_lo
	v_add_co_ci_u32_e64 v3, null, s23, 0, s33
	v_add_co_u32 v2, vcc_lo, 0x1000, v2
	global_load_b128 v[34:37], v[0:1], off slc dlc
	v_add_co_ci_u32_e32 v3, vcc_lo, 0, v3, vcc_lo
	s_waitcnt vmcnt(0)
	v_lshlrev_b64 v[0:1], 4, v[36:37]
	s_delay_alu instid0(VALU_DEP_1) | instskip(NEXT) | instid1(VALU_DEP_2)
	v_add_co_u32 v8, vcc_lo, s3, v0
	v_add_co_ci_u32_e32 v9, vcc_lo, s27, v1, vcc_lo
	global_load_b128 v[0:3], v[2:3], off slc dlc
	global_load_b128 v[36:39], v[8:9], off
	s_waitcnt vmcnt(0)
	v_mul_f64 v[8:9], v[38:39], -v[2:3]
	v_mul_f64 v[12:13], v[0:1], v[38:39]
	s_delay_alu instid0(VALU_DEP_2) | instskip(NEXT) | instid1(VALU_DEP_2)
	v_fma_f64 v[0:1], v[0:1], v[36:37], v[8:9]
	v_fma_f64 v[2:3], v[2:3], v[36:37], v[12:13]
	v_sub_co_u32 v8, vcc_lo, v34, s26
	v_subrev_co_ci_u32_e32 v9, vcc_lo, 0, v35, vcc_lo
.LBB30_45:                              ;   in Loop: Header=BB30_43 Depth=1
	s_or_b32 exec_lo, exec_lo, s2
	s_and_saveexec_b32 s2, s0
	s_cbranch_execz .LBB30_52
; %bb.46:                               ;   in Loop: Header=BB30_43 Depth=1
	ds_load_b64 v[12:13], v33 offset:6136
	s_mov_b32 s33, exec_lo
	s_waitcnt lgkmcnt(0)
	v_cmpx_ne_u64_e64 v[8:9], v[12:13]
	s_xor_b32 s33, exec_lo, s33
	s_cbranch_execz .LBB30_49
; %bb.47:                               ;   in Loop: Header=BB30_43 Depth=1
	v_cmp_gt_i64_e32 vcc_lo, 0, v[12:13]
	s_cbranch_vccnz .LBB30_49
; %bb.48:                               ;   in Loop: Header=BB30_43 Depth=1
	v_lshlrev_b64 v[12:13], 4, v[12:13]
	ds_load_b128 v[38:41], v33 offset:4080
	v_add_co_u32 v12, vcc_lo, s28, v12
	v_add_co_ci_u32_e32 v13, vcc_lo, s29, v13, vcc_lo
	global_load_b128 v[34:37], v[12:13], off
	s_waitcnt vmcnt(0) lgkmcnt(0)
	v_fma_f64 v[34:35], v[4:5], v[38:39], v[34:35]
	v_fma_f64 v[36:37], v[6:7], v[38:39], v[36:37]
	s_delay_alu instid0(VALU_DEP_2) | instskip(NEXT) | instid1(VALU_DEP_2)
	v_fma_f64 v[34:35], -v[6:7], v[40:41], v[34:35]
	v_fma_f64 v[36:37], v[4:5], v[40:41], v[36:37]
	global_store_b128 v[12:13], v[34:37], off
.LBB30_49:                              ;   in Loop: Header=BB30_43 Depth=1
	s_and_not1_saveexec_b32 s33, s33
	s_cbranch_execz .LBB30_51
; %bb.50:                               ;   in Loop: Header=BB30_43 Depth=1
	ds_load_b128 v[34:37], v33 offset:4080
	s_waitcnt lgkmcnt(0)
	v_add_f64 v[0:1], v[0:1], v[34:35]
	v_add_f64 v[2:3], v[2:3], v[36:37]
.LBB30_51:                              ;   in Loop: Header=BB30_43 Depth=1
	s_or_b32 exec_lo, exec_lo, s33
.LBB30_52:                              ;   in Loop: Header=BB30_43 Depth=1
	s_delay_alu instid0(SALU_CYCLE_1)
	s_or_b32 exec_lo, exec_lo, s2
	s_waitcnt lgkmcnt(0)
	s_waitcnt_vscnt null, 0x0
	s_barrier
	buffer_gl0_inv
	ds_store_b64 v15, v[8:9]
	ds_store_b128 v16, v[0:3]
	s_waitcnt lgkmcnt(0)
	s_barrier
	buffer_gl0_inv
	s_and_saveexec_b32 s2, s1
	s_cbranch_execz .LBB30_56
; %bb.53:                               ;   in Loop: Header=BB30_43 Depth=1
	ds_load_b64 v[12:13], v17
	s_mov_b32 s33, exec_lo
	s_waitcnt lgkmcnt(0)
	v_cmpx_eq_u64_e64 v[8:9], v[12:13]
	s_cbranch_execz .LBB30_55
; %bb.54:                               ;   in Loop: Header=BB30_43 Depth=1
	ds_load_b128 v[34:37], v25
	s_waitcnt lgkmcnt(0)
	v_add_f64 v[0:1], v[0:1], v[34:35]
	v_add_f64 v[2:3], v[2:3], v[36:37]
.LBB30_55:                              ;   in Loop: Header=BB30_43 Depth=1
	s_or_b32 exec_lo, exec_lo, s33
.LBB30_56:                              ;   in Loop: Header=BB30_43 Depth=1
	s_delay_alu instid0(SALU_CYCLE_1)
	s_or_b32 exec_lo, exec_lo, s2
	s_barrier
	buffer_gl0_inv
	ds_store_b128 v16, v[0:3]
	s_waitcnt lgkmcnt(0)
	s_barrier
	buffer_gl0_inv
	s_and_saveexec_b32 s2, s4
	s_cbranch_execz .LBB30_60
; %bb.57:                               ;   in Loop: Header=BB30_43 Depth=1
	ds_load_b64 v[12:13], v18
	s_mov_b32 s33, exec_lo
	s_waitcnt lgkmcnt(0)
	v_cmpx_eq_u64_e64 v[8:9], v[12:13]
	s_cbranch_execz .LBB30_59
; %bb.58:                               ;   in Loop: Header=BB30_43 Depth=1
	ds_load_b128 v[34:37], v26
	s_waitcnt lgkmcnt(0)
	v_add_f64 v[0:1], v[0:1], v[34:35]
	v_add_f64 v[2:3], v[2:3], v[36:37]
.LBB30_59:                              ;   in Loop: Header=BB30_43 Depth=1
	s_or_b32 exec_lo, exec_lo, s33
.LBB30_60:                              ;   in Loop: Header=BB30_43 Depth=1
	s_delay_alu instid0(SALU_CYCLE_1)
	s_or_b32 exec_lo, exec_lo, s2
	s_barrier
	buffer_gl0_inv
	;; [unrolled: 24-line block ×8, first 2 shown]
	ds_store_b128 v16, v[0:3]
	s_waitcnt lgkmcnt(0)
	s_barrier
	buffer_gl0_inv
	s_and_saveexec_b32 s33, s11
	s_cbranch_execz .LBB30_42
; %bb.85:                               ;   in Loop: Header=BB30_43 Depth=1
	ds_load_b64 v[12:13], v15 offset:8
	v_cmp_lt_i64_e64 s2, -1, v[8:9]
	s_waitcnt lgkmcnt(0)
	v_cmp_ne_u64_e32 vcc_lo, v[8:9], v[12:13]
	s_delay_alu instid0(VALU_DEP_2) | instskip(NEXT) | instid1(SALU_CYCLE_1)
	s_and_b32 s2, s2, vcc_lo
	s_and_b32 exec_lo, exec_lo, s2
	s_cbranch_execz .LBB30_42
; %bb.86:                               ;   in Loop: Header=BB30_43 Depth=1
	v_lshlrev_b64 v[12:13], 4, v[8:9]
	s_delay_alu instid0(VALU_DEP_1) | instskip(NEXT) | instid1(VALU_DEP_2)
	v_add_co_u32 v12, vcc_lo, s28, v12
	v_add_co_ci_u32_e32 v13, vcc_lo, s29, v13, vcc_lo
	global_load_b128 v[34:37], v[12:13], off
	s_waitcnt vmcnt(0)
	v_fma_f64 v[34:35], v[4:5], v[0:1], v[34:35]
	v_fma_f64 v[36:37], v[6:7], v[0:1], v[36:37]
	s_delay_alu instid0(VALU_DEP_2) | instskip(NEXT) | instid1(VALU_DEP_2)
	v_fma_f64 v[34:35], -v[6:7], v[2:3], v[34:35]
	v_fma_f64 v[36:37], v[4:5], v[2:3], v[36:37]
	global_store_b128 v[12:13], v[34:37], off
	s_branch .LBB30_42
.LBB30_87:
	v_cmp_eq_u32_e32 vcc_lo, 0xff, v14
	s_and_b32 exec_lo, exec_lo, vcc_lo
	s_cbranch_execz .LBB30_89
; %bb.88:
	v_mul_f64 v[10:11], v[2:3], -v[6:7]
	v_mul_f64 v[12:13], v[4:5], v[2:3]
	s_lshl_b64 s[0:1], s[24:25], 3
	s_waitcnt lgkmcnt(0)
	s_add_u32 s0, s12, s0
	s_addc_u32 s1, s13, s1
	s_lshl_b64 s[2:3], s[24:25], 4
	s_delay_alu instid0(SALU_CYCLE_1) | instskip(SKIP_1) | instid1(VALU_DEP_2)
	s_add_u32 s2, s14, s2
	s_addc_u32 s3, s15, s3
	v_fma_f64 v[2:3], v[4:5], v[0:1], v[10:11]
	s_delay_alu instid0(VALU_DEP_2)
	v_fma_f64 v[4:5], v[6:7], v[0:1], v[12:13]
	v_mov_b32_e32 v0, 0
	s_clause 0x1
	global_store_b64 v0, v[8:9], s[0:1] glc slc dlc
	global_store_b128 v0, v[2:5], s[2:3] glc slc dlc
.LBB30_89:
	s_nop 0
	s_sendmsg sendmsg(MSG_DEALLOC_VGPRS)
	s_endpgm
	.section	.rodata,"a",@progbits
	.p2align	6, 0x0
	.amdhsa_kernel _ZN9rocsparseL26coomvn_aos_segmented_loopsILj256El21rocsparse_complex_numIdES2_S2_S2_EEvlT0_NS_24const_host_device_scalarIT4_EEPKS3_PKT1_PKT2_PT3_PS3_PS5_21rocsparse_index_base_b
		.amdhsa_group_segment_fixed_size 8192
		.amdhsa_private_segment_fixed_size 0
		.amdhsa_kernarg_size 88
		.amdhsa_user_sgpr_count 15
		.amdhsa_user_sgpr_dispatch_ptr 1
		.amdhsa_user_sgpr_queue_ptr 0
		.amdhsa_user_sgpr_kernarg_segment_ptr 1
		.amdhsa_user_sgpr_dispatch_id 0
		.amdhsa_user_sgpr_private_segment_size 0
		.amdhsa_wavefront_size32 1
		.amdhsa_uses_dynamic_stack 0
		.amdhsa_enable_private_segment 0
		.amdhsa_system_sgpr_workgroup_id_x 1
		.amdhsa_system_sgpr_workgroup_id_y 0
		.amdhsa_system_sgpr_workgroup_id_z 0
		.amdhsa_system_sgpr_workgroup_info 0
		.amdhsa_system_vgpr_workitem_id 2
		.amdhsa_next_free_vgpr 42
		.amdhsa_next_free_sgpr 38
		.amdhsa_reserve_vcc 1
		.amdhsa_float_round_mode_32 0
		.amdhsa_float_round_mode_16_64 0
		.amdhsa_float_denorm_mode_32 3
		.amdhsa_float_denorm_mode_16_64 3
		.amdhsa_dx10_clamp 1
		.amdhsa_ieee_mode 1
		.amdhsa_fp16_overflow 0
		.amdhsa_workgroup_processor_mode 1
		.amdhsa_memory_ordered 1
		.amdhsa_forward_progress 0
		.amdhsa_shared_vgpr_count 0
		.amdhsa_exception_fp_ieee_invalid_op 0
		.amdhsa_exception_fp_denorm_src 0
		.amdhsa_exception_fp_ieee_div_zero 0
		.amdhsa_exception_fp_ieee_overflow 0
		.amdhsa_exception_fp_ieee_underflow 0
		.amdhsa_exception_fp_ieee_inexact 0
		.amdhsa_exception_int_div_zero 0
	.end_amdhsa_kernel
	.section	.text._ZN9rocsparseL26coomvn_aos_segmented_loopsILj256El21rocsparse_complex_numIdES2_S2_S2_EEvlT0_NS_24const_host_device_scalarIT4_EEPKS3_PKT1_PKT2_PT3_PS3_PS5_21rocsparse_index_base_b,"axG",@progbits,_ZN9rocsparseL26coomvn_aos_segmented_loopsILj256El21rocsparse_complex_numIdES2_S2_S2_EEvlT0_NS_24const_host_device_scalarIT4_EEPKS3_PKT1_PKT2_PT3_PS3_PS5_21rocsparse_index_base_b,comdat
.Lfunc_end30:
	.size	_ZN9rocsparseL26coomvn_aos_segmented_loopsILj256El21rocsparse_complex_numIdES2_S2_S2_EEvlT0_NS_24const_host_device_scalarIT4_EEPKS3_PKT1_PKT2_PT3_PS3_PS5_21rocsparse_index_base_b, .Lfunc_end30-_ZN9rocsparseL26coomvn_aos_segmented_loopsILj256El21rocsparse_complex_numIdES2_S2_S2_EEvlT0_NS_24const_host_device_scalarIT4_EEPKS3_PKT1_PKT2_PT3_PS3_PS5_21rocsparse_index_base_b
                                        ; -- End function
	.section	.AMDGPU.csdata,"",@progbits
; Kernel info:
; codeLenInByte = 3616
; NumSgprs: 40
; NumVgprs: 42
; ScratchSize: 0
; MemoryBound: 1
; FloatMode: 240
; IeeeMode: 1
; LDSByteSize: 8192 bytes/workgroup (compile time only)
; SGPRBlocks: 4
; VGPRBlocks: 5
; NumSGPRsForWavesPerEU: 40
; NumVGPRsForWavesPerEU: 42
; Occupancy: 16
; WaveLimiterHint : 1
; COMPUTE_PGM_RSRC2:SCRATCH_EN: 0
; COMPUTE_PGM_RSRC2:USER_SGPR: 15
; COMPUTE_PGM_RSRC2:TRAP_HANDLER: 0
; COMPUTE_PGM_RSRC2:TGID_X_EN: 1
; COMPUTE_PGM_RSRC2:TGID_Y_EN: 0
; COMPUTE_PGM_RSRC2:TGID_Z_EN: 0
; COMPUTE_PGM_RSRC2:TIDIG_COMP_CNT: 2
	.section	.text._ZN9rocsparseL29coomvn_segmented_loops_reduceILj256El21rocsparse_complex_numIdES2_EEvT0_NS_24const_host_device_scalarIT2_EEPKS3_PKS5_PT1_b,"axG",@progbits,_ZN9rocsparseL29coomvn_segmented_loops_reduceILj256El21rocsparse_complex_numIdES2_EEvT0_NS_24const_host_device_scalarIT2_EEPKS3_PKS5_PT1_b,comdat
	.globl	_ZN9rocsparseL29coomvn_segmented_loops_reduceILj256El21rocsparse_complex_numIdES2_EEvT0_NS_24const_host_device_scalarIT2_EEPKS3_PKS5_PT1_b ; -- Begin function _ZN9rocsparseL29coomvn_segmented_loops_reduceILj256El21rocsparse_complex_numIdES2_EEvT0_NS_24const_host_device_scalarIT2_EEPKS3_PKS5_PT1_b
	.p2align	8
	.type	_ZN9rocsparseL29coomvn_segmented_loops_reduceILj256El21rocsparse_complex_numIdES2_EEvT0_NS_24const_host_device_scalarIT2_EEPKS3_PKS5_PT1_b,@function
_ZN9rocsparseL29coomvn_segmented_loops_reduceILj256El21rocsparse_complex_numIdES2_EEvT0_NS_24const_host_device_scalarIT2_EEPKS3_PKS5_PT1_b: ; @_ZN9rocsparseL29coomvn_segmented_loops_reduceILj256El21rocsparse_complex_numIdES2_EEvT0_NS_24const_host_device_scalarIT2_EEPKS3_PKS5_PT1_b
; %bb.0:
	s_load_b32 s4, s[2:3], 0x30
	s_load_b64 s[0:1], s[0:1], 0x4
	s_load_b128 s[12:15], s[2:3], 0x0
	v_bfe_u32 v2, v0, 10, 10
	s_waitcnt lgkmcnt(0)
	s_and_b32 s4, 1, s4
	s_lshr_b32 s0, s0, 16
	s_cmp_eq_u32 s4, 1
	s_load_b64 s[4:5], s[2:3], 0x10
	v_and_b32_e32 v14, 0x3ff, v0
	s_mul_i32 s0, s0, s1
	v_bfe_u32 v0, v0, 20, 10
	s_cselect_b32 vcc_lo, -1, 0
	s_delay_alu instid0(VALU_DEP_2) | instskip(NEXT) | instid1(VALU_DEP_1)
	v_mul_lo_u32 v1, s0, v14
	v_mad_u32_u24 v1, v2, s1, v1
	s_mov_b64 s[0:1], src_shared_base
	v_dual_mov_b32 v2, s14 :: v_dual_mov_b32 v3, s15
	s_delay_alu instid0(VALU_DEP_2) | instskip(NEXT) | instid1(VALU_DEP_1)
	v_add_lshl_u32 v4, v1, v0, 3
	v_add_nc_u32_e32 v0, 0x1800, v4
	ds_store_b64 v4, v[2:3] offset:6144
	s_waitcnt lgkmcnt(0)
	v_dual_mov_b32 v2, s4 :: v_dual_mov_b32 v3, s5
	v_cndmask_b32_e32 v0, s14, v0, vcc_lo
	s_and_b32 vcc_lo, exec_lo, vcc_lo
	s_cselect_b32 s0, s1, s15
	s_delay_alu instid0(SALU_CYCLE_1)
	v_mov_b32_e32 v1, s0
	flat_load_b64 v[0:1], v[0:1]
	s_cbranch_vccnz .LBB31_2
; %bb.1:
	v_dual_mov_b32 v2, s14 :: v_dual_mov_b32 v3, s15
	flat_load_b64 v[2:3], v[2:3] offset:8
.LBB31_2:
	s_waitcnt vmcnt(0) lgkmcnt(0)
	v_cmp_neq_f64_e32 vcc_lo, 0, v[0:1]
	v_cmp_neq_f64_e64 s0, 0, v[2:3]
	s_delay_alu instid0(VALU_DEP_1) | instskip(NEXT) | instid1(SALU_CYCLE_1)
	s_or_b32 s0, vcc_lo, s0
	s_and_saveexec_b32 s1, s0
	s_cbranch_execz .LBB31_44
; %bb.3:
	v_cmp_lt_i64_e64 s0, s[12:13], 1
	s_delay_alu instid0(VALU_DEP_1)
	s_and_b32 vcc_lo, exec_lo, s0
	s_cbranch_vccnz .LBB31_44
; %bb.4:
	s_clause 0x1
	s_load_b128 s[16:19], s[2:3], 0x18
	s_load_b64 s[10:11], s[2:3], 0x28
	v_lshlrev_b32_e32 v15, 4, v14
	v_lshlrev_b32_e32 v0, 3, v14
	v_cmp_ne_u32_e64 s0, 0, v14
	v_cmp_lt_u32_e64 s1, 1, v14
	v_cmp_lt_u32_e64 s2, 3, v14
	v_add_nc_u32_e32 v18, -16, v15
	v_or_b32_e32 v16, 0x1000, v0
	v_add_nc_u32_e32 v17, 0xff8, v0
	v_add_nc_u32_e32 v19, 0xff0, v0
	v_subrev_nc_u32_e32 v20, 32, v15
	v_add_nc_u32_e32 v21, 0xfe0, v0
	v_subrev_nc_u32_e32 v22, 64, v15
	v_cmp_lt_u32_e64 s3, 7, v14
	v_add_nc_u32_e32 v23, 0xfc0, v0
	v_add_nc_u32_e32 v24, 0xffffff80, v15
	v_cmp_lt_u32_e64 s4, 15, v14
	v_add_nc_u32_e32 v25, 0xf80, v0
	v_add_nc_u32_e32 v26, 0xffffff00, v15
	s_waitcnt lgkmcnt(0)
	v_add_co_u32 v1, s9, v15, s18
	s_delay_alu instid0(VALU_DEP_1) | instskip(SKIP_1) | instid1(VALU_DEP_3)
	v_add_co_ci_u32_e64 v2, null, 0, s19, s9
	v_add_co_u32 v8, s9, s16, v0
	v_add_co_u32 v10, vcc_lo, v1, 8
	v_cmp_lt_u32_e64 s5, 31, v14
	v_add_nc_u32_e32 v27, 0xf00, v0
	v_add_nc_u32_e32 v28, 0xfffffe00, v15
	v_cmp_lt_u32_e64 s6, 63, v14
	v_add_nc_u32_e32 v29, 0xe00, v0
	v_add_nc_u32_e32 v30, 0xfffffc00, v15
	;; [unrolled: 3-line block ×3, first 2 shown]
	v_cmp_gt_u32_e64 s8, 0xff, v14
	v_add_co_ci_u32_e64 v9, null, s17, 0, s9
	v_add_co_ci_u32_e32 v11, vcc_lo, 0, v2, vcc_lo
	s_mov_b64 s[14:15], 0
	s_branch .LBB31_6
.LBB31_5:                               ;   in Loop: Header=BB31_6 Depth=1
	s_or_b32 exec_lo, exec_lo, s9
	s_add_u32 s14, s14, 0x100
	s_addc_u32 s15, s15, 0
	v_add_co_u32 v8, vcc_lo, 0x800, v8
	v_cmp_lt_i64_e64 s9, s[14:15], s[12:13]
	v_add_co_ci_u32_e32 v9, vcc_lo, 0, v9, vcc_lo
	v_add_co_u32 v10, vcc_lo, 0x1000, v10
	v_add_co_ci_u32_e32 v11, vcc_lo, 0, v11, vcc_lo
	s_delay_alu instid0(VALU_DEP_4)
	s_and_b32 vcc_lo, exec_lo, s9
	s_waitcnt_vscnt null, 0x0
	s_barrier
	buffer_gl0_inv
	s_cbranch_vccz .LBB31_44
.LBB31_6:                               ; =>This Inner Loop Header: Depth=1
	v_mov_b32_e32 v2, 0
	v_dual_mov_b32 v3, 0 :: v_dual_mov_b32 v12, -1
	v_add_co_u32 v0, s9, v14, s14
	s_delay_alu instid0(VALU_DEP_1) | instskip(SKIP_1) | instid1(VALU_DEP_4)
	v_add_co_ci_u32_e64 v1, null, 0, s15, s9
	v_mov_b32_e32 v13, -1
	v_dual_mov_b32 v7, v3 :: v_dual_mov_b32 v6, v2
	v_dual_mov_b32 v5, v3 :: v_dual_mov_b32 v4, v2
	s_mov_b32 s9, exec_lo
	v_cmpx_gt_i64_e64 s[12:13], v[0:1]
	s_cbranch_execz .LBB31_8
; %bb.7:                                ;   in Loop: Header=BB31_6 Depth=1
	global_load_b64 v[12:13], v[8:9], off
	global_load_b128 v[4:7], v[10:11], off offset:-8
.LBB31_8:                               ;   in Loop: Header=BB31_6 Depth=1
	s_or_b32 exec_lo, exec_lo, s9
	v_dual_mov_b32 v0, v2 :: v_dual_mov_b32 v1, v3
	s_waitcnt vmcnt(1)
	ds_store_b64 v16, v[12:13]
	s_waitcnt vmcnt(0)
	ds_store_b128 v15, v[4:7]
	s_waitcnt lgkmcnt(0)
	s_barrier
	buffer_gl0_inv
	s_and_saveexec_b32 s9, s0
	s_cbranch_execz .LBB31_12
; %bb.9:                                ;   in Loop: Header=BB31_6 Depth=1
	ds_load_2addr_b64 v[2:5], v17 offset1:1
	v_mov_b32_e32 v0, 0
	v_mov_b32_e32 v1, 0
	s_waitcnt lgkmcnt(0)
	v_cmp_eq_u64_e32 vcc_lo, v[4:5], v[2:3]
	s_delay_alu instid0(VALU_DEP_2)
	v_dual_mov_b32 v3, v1 :: v_dual_mov_b32 v2, v0
	s_and_saveexec_b32 s16, vcc_lo
	s_cbranch_execz .LBB31_11
; %bb.10:                               ;   in Loop: Header=BB31_6 Depth=1
	ds_load_b128 v[0:3], v18
.LBB31_11:                              ;   in Loop: Header=BB31_6 Depth=1
	s_or_b32 exec_lo, exec_lo, s16
.LBB31_12:                              ;   in Loop: Header=BB31_6 Depth=1
	s_delay_alu instid0(SALU_CYCLE_1)
	s_or_b32 exec_lo, exec_lo, s9
	s_waitcnt lgkmcnt(0)
	s_barrier
	buffer_gl0_inv
	ds_load_b128 v[4:7], v15
	s_waitcnt lgkmcnt(0)
	v_add_f64 v[33:34], v[0:1], v[4:5]
	v_add_f64 v[35:36], v[2:3], v[6:7]
	v_mov_b32_e32 v2, 0
	v_mov_b32_e32 v3, 0
	s_delay_alu instid0(VALU_DEP_1)
	v_dual_mov_b32 v7, v3 :: v_dual_mov_b32 v6, v2
	v_dual_mov_b32 v5, v3 :: v_dual_mov_b32 v4, v2
	ds_store_b128 v15, v[33:36]
	s_waitcnt lgkmcnt(0)
	s_barrier
	buffer_gl0_inv
	s_and_saveexec_b32 s9, s1
	s_cbranch_execz .LBB31_16
; %bb.13:                               ;   in Loop: Header=BB31_6 Depth=1
	ds_load_b64 v[0:1], v16
	ds_load_b64 v[6:7], v19
	v_mov_b32_e32 v4, 0
	v_mov_b32_e32 v5, 0
	s_waitcnt lgkmcnt(0)
	v_cmp_eq_u64_e32 vcc_lo, v[0:1], v[6:7]
	s_delay_alu instid0(VALU_DEP_2)
	v_dual_mov_b32 v7, v5 :: v_dual_mov_b32 v6, v4
	s_and_saveexec_b32 s16, vcc_lo
	s_cbranch_execz .LBB31_15
; %bb.14:                               ;   in Loop: Header=BB31_6 Depth=1
	ds_load_b128 v[4:7], v20
.LBB31_15:                              ;   in Loop: Header=BB31_6 Depth=1
	s_or_b32 exec_lo, exec_lo, s16
.LBB31_16:                              ;   in Loop: Header=BB31_6 Depth=1
	s_delay_alu instid0(SALU_CYCLE_1)
	s_or_b32 exec_lo, exec_lo, s9
	s_waitcnt lgkmcnt(0)
	s_barrier
	buffer_gl0_inv
	ds_load_b128 v[33:36], v15
	v_dual_mov_b32 v0, v2 :: v_dual_mov_b32 v1, v3
	s_waitcnt lgkmcnt(0)
	v_add_f64 v[4:5], v[4:5], v[33:34]
	v_add_f64 v[6:7], v[6:7], v[35:36]
	ds_store_b128 v15, v[4:7]
	s_waitcnt lgkmcnt(0)
	s_barrier
	buffer_gl0_inv
	s_and_saveexec_b32 s9, s2
	s_cbranch_execz .LBB31_20
; %bb.17:                               ;   in Loop: Header=BB31_6 Depth=1
	ds_load_b64 v[2:3], v16
	ds_load_b64 v[4:5], v21
	v_mov_b32_e32 v0, 0
	v_mov_b32_e32 v1, 0
	s_waitcnt lgkmcnt(0)
	v_cmp_eq_u64_e32 vcc_lo, v[2:3], v[4:5]
	s_delay_alu instid0(VALU_DEP_2)
	v_dual_mov_b32 v3, v1 :: v_dual_mov_b32 v2, v0
	s_and_saveexec_b32 s16, vcc_lo
	s_cbranch_execz .LBB31_19
; %bb.18:                               ;   in Loop: Header=BB31_6 Depth=1
	ds_load_b128 v[0:3], v22
.LBB31_19:                              ;   in Loop: Header=BB31_6 Depth=1
	s_or_b32 exec_lo, exec_lo, s16
.LBB31_20:                              ;   in Loop: Header=BB31_6 Depth=1
	s_delay_alu instid0(SALU_CYCLE_1)
	s_or_b32 exec_lo, exec_lo, s9
	s_waitcnt lgkmcnt(0)
	s_barrier
	buffer_gl0_inv
	ds_load_b128 v[4:7], v15
	s_waitcnt lgkmcnt(0)
	v_add_f64 v[33:34], v[0:1], v[4:5]
	v_add_f64 v[35:36], v[2:3], v[6:7]
	v_mov_b32_e32 v2, 0
	v_mov_b32_e32 v3, 0
	s_delay_alu instid0(VALU_DEP_1)
	v_dual_mov_b32 v7, v3 :: v_dual_mov_b32 v6, v2
	v_dual_mov_b32 v5, v3 :: v_dual_mov_b32 v4, v2
	ds_store_b128 v15, v[33:36]
	s_waitcnt lgkmcnt(0)
	s_barrier
	buffer_gl0_inv
	s_and_saveexec_b32 s9, s3
	s_cbranch_execz .LBB31_24
; %bb.21:                               ;   in Loop: Header=BB31_6 Depth=1
	ds_load_b64 v[0:1], v16
	ds_load_b64 v[6:7], v23
	v_mov_b32_e32 v4, 0
	v_mov_b32_e32 v5, 0
	s_waitcnt lgkmcnt(0)
	v_cmp_eq_u64_e32 vcc_lo, v[0:1], v[6:7]
	s_delay_alu instid0(VALU_DEP_2)
	v_dual_mov_b32 v7, v5 :: v_dual_mov_b32 v6, v4
	s_and_saveexec_b32 s16, vcc_lo
	s_cbranch_execz .LBB31_23
; %bb.22:                               ;   in Loop: Header=BB31_6 Depth=1
	ds_load_b128 v[4:7], v24
.LBB31_23:                              ;   in Loop: Header=BB31_6 Depth=1
	s_or_b32 exec_lo, exec_lo, s16
.LBB31_24:                              ;   in Loop: Header=BB31_6 Depth=1
	s_delay_alu instid0(SALU_CYCLE_1)
	s_or_b32 exec_lo, exec_lo, s9
	s_waitcnt lgkmcnt(0)
	s_barrier
	buffer_gl0_inv
	ds_load_b128 v[33:36], v15
	v_dual_mov_b32 v0, v2 :: v_dual_mov_b32 v1, v3
	s_waitcnt lgkmcnt(0)
	v_add_f64 v[4:5], v[4:5], v[33:34]
	v_add_f64 v[6:7], v[6:7], v[35:36]
	ds_store_b128 v15, v[4:7]
	s_waitcnt lgkmcnt(0)
	s_barrier
	buffer_gl0_inv
	s_and_saveexec_b32 s9, s4
	s_cbranch_execz .LBB31_28
; %bb.25:                               ;   in Loop: Header=BB31_6 Depth=1
	ds_load_b64 v[2:3], v16
	ds_load_b64 v[4:5], v25
	v_mov_b32_e32 v0, 0
	v_mov_b32_e32 v1, 0
	s_waitcnt lgkmcnt(0)
	v_cmp_eq_u64_e32 vcc_lo, v[2:3], v[4:5]
	s_delay_alu instid0(VALU_DEP_2)
	v_dual_mov_b32 v3, v1 :: v_dual_mov_b32 v2, v0
	s_and_saveexec_b32 s16, vcc_lo
	s_cbranch_execz .LBB31_27
; %bb.26:                               ;   in Loop: Header=BB31_6 Depth=1
	ds_load_b128 v[0:3], v26
.LBB31_27:                              ;   in Loop: Header=BB31_6 Depth=1
	s_or_b32 exec_lo, exec_lo, s16
.LBB31_28:                              ;   in Loop: Header=BB31_6 Depth=1
	s_delay_alu instid0(SALU_CYCLE_1)
	s_or_b32 exec_lo, exec_lo, s9
	s_waitcnt lgkmcnt(0)
	s_barrier
	buffer_gl0_inv
	ds_load_b128 v[4:7], v15
	s_waitcnt lgkmcnt(0)
	v_add_f64 v[33:34], v[0:1], v[4:5]
	v_add_f64 v[35:36], v[2:3], v[6:7]
	v_mov_b32_e32 v2, 0
	v_mov_b32_e32 v3, 0
	s_delay_alu instid0(VALU_DEP_1)
	v_dual_mov_b32 v7, v3 :: v_dual_mov_b32 v6, v2
	v_dual_mov_b32 v5, v3 :: v_dual_mov_b32 v4, v2
	ds_store_b128 v15, v[33:36]
	s_waitcnt lgkmcnt(0)
	s_barrier
	buffer_gl0_inv
	s_and_saveexec_b32 s9, s5
	s_cbranch_execz .LBB31_32
; %bb.29:                               ;   in Loop: Header=BB31_6 Depth=1
	ds_load_b64 v[0:1], v16
	ds_load_b64 v[6:7], v27
	v_mov_b32_e32 v4, 0
	v_mov_b32_e32 v5, 0
	s_waitcnt lgkmcnt(0)
	v_cmp_eq_u64_e32 vcc_lo, v[0:1], v[6:7]
	s_delay_alu instid0(VALU_DEP_2)
	v_dual_mov_b32 v7, v5 :: v_dual_mov_b32 v6, v4
	s_and_saveexec_b32 s16, vcc_lo
	s_cbranch_execz .LBB31_31
; %bb.30:                               ;   in Loop: Header=BB31_6 Depth=1
	ds_load_b128 v[4:7], v28
.LBB31_31:                              ;   in Loop: Header=BB31_6 Depth=1
	s_or_b32 exec_lo, exec_lo, s16
.LBB31_32:                              ;   in Loop: Header=BB31_6 Depth=1
	s_delay_alu instid0(SALU_CYCLE_1)
	s_or_b32 exec_lo, exec_lo, s9
	s_waitcnt lgkmcnt(0)
	s_barrier
	buffer_gl0_inv
	ds_load_b128 v[33:36], v15
	v_dual_mov_b32 v0, v2 :: v_dual_mov_b32 v1, v3
	s_waitcnt lgkmcnt(0)
	v_add_f64 v[4:5], v[4:5], v[33:34]
	v_add_f64 v[6:7], v[6:7], v[35:36]
	ds_store_b128 v15, v[4:7]
	s_waitcnt lgkmcnt(0)
	s_barrier
	buffer_gl0_inv
	s_and_saveexec_b32 s9, s6
	s_cbranch_execz .LBB31_36
; %bb.33:                               ;   in Loop: Header=BB31_6 Depth=1
	ds_load_b64 v[2:3], v16
	ds_load_b64 v[4:5], v29
	v_mov_b32_e32 v0, 0
	v_mov_b32_e32 v1, 0
	s_waitcnt lgkmcnt(0)
	v_cmp_eq_u64_e32 vcc_lo, v[2:3], v[4:5]
	s_delay_alu instid0(VALU_DEP_2)
	v_dual_mov_b32 v3, v1 :: v_dual_mov_b32 v2, v0
	s_and_saveexec_b32 s16, vcc_lo
	s_cbranch_execz .LBB31_35
; %bb.34:                               ;   in Loop: Header=BB31_6 Depth=1
	ds_load_b128 v[0:3], v30
.LBB31_35:                              ;   in Loop: Header=BB31_6 Depth=1
	s_or_b32 exec_lo, exec_lo, s16
.LBB31_36:                              ;   in Loop: Header=BB31_6 Depth=1
	s_delay_alu instid0(SALU_CYCLE_1)
	s_or_b32 exec_lo, exec_lo, s9
	s_waitcnt lgkmcnt(0)
	s_barrier
	buffer_gl0_inv
	ds_load_b128 v[4:7], v15
	s_waitcnt lgkmcnt(0)
	v_add_f64 v[4:5], v[0:1], v[4:5]
	v_add_f64 v[6:7], v[2:3], v[6:7]
	v_mov_b32_e32 v2, 0
	v_mov_b32_e32 v3, 0
	s_delay_alu instid0(VALU_DEP_1)
	v_dual_mov_b32 v0, v2 :: v_dual_mov_b32 v1, v3
	ds_store_b128 v15, v[4:7]
	s_waitcnt lgkmcnt(0)
	s_barrier
	buffer_gl0_inv
	s_and_saveexec_b32 s9, s7
	s_cbranch_execz .LBB31_40
; %bb.37:                               ;   in Loop: Header=BB31_6 Depth=1
	ds_load_b64 v[2:3], v16
	ds_load_b64 v[4:5], v31
	v_mov_b32_e32 v0, 0
	v_mov_b32_e32 v1, 0
	s_waitcnt lgkmcnt(0)
	v_cmp_eq_u64_e32 vcc_lo, v[2:3], v[4:5]
	s_delay_alu instid0(VALU_DEP_2)
	v_dual_mov_b32 v3, v1 :: v_dual_mov_b32 v2, v0
	s_and_saveexec_b32 s16, vcc_lo
	s_cbranch_execz .LBB31_39
; %bb.38:                               ;   in Loop: Header=BB31_6 Depth=1
	ds_load_b128 v[0:3], v32
.LBB31_39:                              ;   in Loop: Header=BB31_6 Depth=1
	s_or_b32 exec_lo, exec_lo, s16
.LBB31_40:                              ;   in Loop: Header=BB31_6 Depth=1
	s_delay_alu instid0(SALU_CYCLE_1)
	s_or_b32 exec_lo, exec_lo, s9
	s_waitcnt lgkmcnt(0)
	s_barrier
	buffer_gl0_inv
	ds_load_b128 v[4:7], v15
	s_waitcnt lgkmcnt(0)
	v_add_f64 v[0:1], v[0:1], v[4:5]
	v_add_f64 v[2:3], v[2:3], v[6:7]
	ds_store_b128 v15, v[0:3]
	s_waitcnt lgkmcnt(0)
	s_barrier
	buffer_gl0_inv
	ds_load_b64 v[0:1], v16
	v_mov_b32_e32 v2, -1
	v_mov_b32_e32 v3, -1
	s_and_saveexec_b32 s9, s8
	s_cbranch_execz .LBB31_42
; %bb.41:                               ;   in Loop: Header=BB31_6 Depth=1
	ds_load_b64 v[2:3], v16 offset:8
.LBB31_42:                              ;   in Loop: Header=BB31_6 Depth=1
	s_or_b32 exec_lo, exec_lo, s9
	s_waitcnt lgkmcnt(0)
	v_cmp_ne_u64_e32 vcc_lo, v[0:1], v[2:3]
	v_cmp_lt_i64_e64 s9, -1, v[0:1]
	s_delay_alu instid0(VALU_DEP_1) | instskip(NEXT) | instid1(SALU_CYCLE_1)
	s_and_b32 s16, s9, vcc_lo
	s_and_saveexec_b32 s9, s16
	s_cbranch_execz .LBB31_5
; %bb.43:                               ;   in Loop: Header=BB31_6 Depth=1
	v_lshlrev_b64 v[0:1], 4, v[0:1]
	ds_load_b128 v[4:7], v15
	v_add_co_u32 v12, vcc_lo, s10, v0
	v_add_co_ci_u32_e32 v13, vcc_lo, s11, v1, vcc_lo
	global_load_b128 v[0:3], v[12:13], off
	s_waitcnt vmcnt(0) lgkmcnt(0)
	v_add_f64 v[0:1], v[4:5], v[0:1]
	v_add_f64 v[2:3], v[6:7], v[2:3]
	global_store_b128 v[12:13], v[0:3], off
	s_branch .LBB31_5
.LBB31_44:
	s_endpgm
	.section	.rodata,"a",@progbits
	.p2align	6, 0x0
	.amdhsa_kernel _ZN9rocsparseL29coomvn_segmented_loops_reduceILj256El21rocsparse_complex_numIdES2_EEvT0_NS_24const_host_device_scalarIT2_EEPKS3_PKS5_PT1_b
		.amdhsa_group_segment_fixed_size 8192
		.amdhsa_private_segment_fixed_size 0
		.amdhsa_kernarg_size 52
		.amdhsa_user_sgpr_count 15
		.amdhsa_user_sgpr_dispatch_ptr 1
		.amdhsa_user_sgpr_queue_ptr 0
		.amdhsa_user_sgpr_kernarg_segment_ptr 1
		.amdhsa_user_sgpr_dispatch_id 0
		.amdhsa_user_sgpr_private_segment_size 0
		.amdhsa_wavefront_size32 1
		.amdhsa_uses_dynamic_stack 0
		.amdhsa_enable_private_segment 0
		.amdhsa_system_sgpr_workgroup_id_x 1
		.amdhsa_system_sgpr_workgroup_id_y 0
		.amdhsa_system_sgpr_workgroup_id_z 0
		.amdhsa_system_sgpr_workgroup_info 0
		.amdhsa_system_vgpr_workitem_id 2
		.amdhsa_next_free_vgpr 37
		.amdhsa_next_free_sgpr 20
		.amdhsa_reserve_vcc 1
		.amdhsa_float_round_mode_32 0
		.amdhsa_float_round_mode_16_64 0
		.amdhsa_float_denorm_mode_32 3
		.amdhsa_float_denorm_mode_16_64 3
		.amdhsa_dx10_clamp 1
		.amdhsa_ieee_mode 1
		.amdhsa_fp16_overflow 0
		.amdhsa_workgroup_processor_mode 1
		.amdhsa_memory_ordered 1
		.amdhsa_forward_progress 0
		.amdhsa_shared_vgpr_count 0
		.amdhsa_exception_fp_ieee_invalid_op 0
		.amdhsa_exception_fp_denorm_src 0
		.amdhsa_exception_fp_ieee_div_zero 0
		.amdhsa_exception_fp_ieee_overflow 0
		.amdhsa_exception_fp_ieee_underflow 0
		.amdhsa_exception_fp_ieee_inexact 0
		.amdhsa_exception_int_div_zero 0
	.end_amdhsa_kernel
	.section	.text._ZN9rocsparseL29coomvn_segmented_loops_reduceILj256El21rocsparse_complex_numIdES2_EEvT0_NS_24const_host_device_scalarIT2_EEPKS3_PKS5_PT1_b,"axG",@progbits,_ZN9rocsparseL29coomvn_segmented_loops_reduceILj256El21rocsparse_complex_numIdES2_EEvT0_NS_24const_host_device_scalarIT2_EEPKS3_PKS5_PT1_b,comdat
.Lfunc_end31:
	.size	_ZN9rocsparseL29coomvn_segmented_loops_reduceILj256El21rocsparse_complex_numIdES2_EEvT0_NS_24const_host_device_scalarIT2_EEPKS3_PKS5_PT1_b, .Lfunc_end31-_ZN9rocsparseL29coomvn_segmented_loops_reduceILj256El21rocsparse_complex_numIdES2_EEvT0_NS_24const_host_device_scalarIT2_EEPKS3_PKS5_PT1_b
                                        ; -- End function
	.section	.AMDGPU.csdata,"",@progbits
; Kernel info:
; codeLenInByte = 2208
; NumSgprs: 22
; NumVgprs: 37
; ScratchSize: 0
; MemoryBound: 1
; FloatMode: 240
; IeeeMode: 1
; LDSByteSize: 8192 bytes/workgroup (compile time only)
; SGPRBlocks: 2
; VGPRBlocks: 4
; NumSGPRsForWavesPerEU: 22
; NumVGPRsForWavesPerEU: 37
; Occupancy: 16
; WaveLimiterHint : 0
; COMPUTE_PGM_RSRC2:SCRATCH_EN: 0
; COMPUTE_PGM_RSRC2:USER_SGPR: 15
; COMPUTE_PGM_RSRC2:TRAP_HANDLER: 0
; COMPUTE_PGM_RSRC2:TGID_X_EN: 1
; COMPUTE_PGM_RSRC2:TGID_Y_EN: 0
; COMPUTE_PGM_RSRC2:TGID_Z_EN: 0
; COMPUTE_PGM_RSRC2:TIDIG_COMP_CNT: 2
	.section	.text._ZN9rocsparseL23coomvn_aos_atomic_loopsILj256ELj1EiaaiiEEvlNS_24const_host_device_scalarIT5_EEPKT1_PKT2_PKT3_PT4_21rocsparse_index_base_b,"axG",@progbits,_ZN9rocsparseL23coomvn_aos_atomic_loopsILj256ELj1EiaaiiEEvlNS_24const_host_device_scalarIT5_EEPKT1_PKT2_PKT3_PT4_21rocsparse_index_base_b,comdat
	.globl	_ZN9rocsparseL23coomvn_aos_atomic_loopsILj256ELj1EiaaiiEEvlNS_24const_host_device_scalarIT5_EEPKT1_PKT2_PKT3_PT4_21rocsparse_index_base_b ; -- Begin function _ZN9rocsparseL23coomvn_aos_atomic_loopsILj256ELj1EiaaiiEEvlNS_24const_host_device_scalarIT5_EEPKT1_PKT2_PKT3_PT4_21rocsparse_index_base_b
	.p2align	8
	.type	_ZN9rocsparseL23coomvn_aos_atomic_loopsILj256ELj1EiaaiiEEvlNS_24const_host_device_scalarIT5_EEPKT1_PKT2_PKT3_PT4_21rocsparse_index_base_b,@function
_ZN9rocsparseL23coomvn_aos_atomic_loopsILj256ELj1EiaaiiEEvlNS_24const_host_device_scalarIT5_EEPKT1_PKT2_PKT3_PT4_21rocsparse_index_base_b: ; @_ZN9rocsparseL23coomvn_aos_atomic_loopsILj256ELj1EiaaiiEEvlNS_24const_host_device_scalarIT5_EEPKT1_PKT2_PKT3_PT4_21rocsparse_index_base_b
; %bb.0:
	s_clause 0x1
	s_load_b64 s[2:3], s[0:1], 0x30
	s_load_b128 s[4:7], s[0:1], 0x0
	s_waitcnt lgkmcnt(0)
	s_bitcmp0_b32 s3, 0
	s_mov_b32 s3, 0
	s_cbranch_scc0 .LBB32_2
; %bb.1:
	s_load_b32 s7, s[6:7], 0x0
	s_and_not1_b32 vcc_lo, exec_lo, s3
	s_cbranch_vccz .LBB32_3
	s_branch .LBB32_4
.LBB32_2:
                                        ; implicit-def: $sgpr7
.LBB32_3:
	s_waitcnt lgkmcnt(0)
	s_mov_b32 s7, s6
.LBB32_4:
	s_waitcnt lgkmcnt(0)
	s_cmp_eq_u32 s7, 0
	s_cbranch_scc1 .LBB32_44
; %bb.5:
	v_lshl_or_b32 v1, s15, 8, v0
	v_dual_mov_b32 v2, 0 :: v_dual_mov_b32 v3, -1
	s_mov_b32 s3, exec_lo
	s_delay_alu instid0(VALU_DEP_1)
	v_cmpx_gt_i64_e64 s[4:5], v[1:2]
	s_cbranch_execz .LBB32_7
; %bb.6:
	s_clause 0x1
	s_load_b128 s[8:11], s[0:1], 0x10
	s_load_b64 s[4:5], s[0:1], 0x20
	v_lshlrev_b64 v[2:3], 3, v[1:2]
	s_waitcnt lgkmcnt(0)
	s_delay_alu instid0(VALU_DEP_1) | instskip(NEXT) | instid1(VALU_DEP_2)
	v_add_co_u32 v2, vcc_lo, s8, v2
	v_add_co_ci_u32_e32 v3, vcc_lo, s9, v3, vcc_lo
	global_load_b64 v[2:3], v[2:3], off slc dlc
	s_waitcnt vmcnt(0)
	v_subrev_nc_u32_e32 v5, s2, v3
	v_add_co_u32 v3, s6, s10, v1
	s_delay_alu instid0(VALU_DEP_1) | instskip(NEXT) | instid1(VALU_DEP_3)
	v_add_co_ci_u32_e64 v4, null, s11, 0, s6
	v_ashrrev_i32_e32 v6, 31, v5
	v_add_co_u32 v5, vcc_lo, s4, v5
	s_delay_alu instid0(VALU_DEP_2)
	v_add_co_ci_u32_e32 v6, vcc_lo, s5, v6, vcc_lo
	global_load_i8 v1, v[3:4], off slc dlc
	global_load_i8 v4, v[5:6], off
	v_subrev_nc_u32_e32 v3, s2, v2
	s_waitcnt vmcnt(0)
	v_mul_i32_i24_e32 v2, v4, v1
.LBB32_7:
	s_or_b32 exec_lo, exec_lo, s3
	v_lshlrev_b32_e32 v1, 2, v0
	s_mov_b32 s2, exec_lo
	s_delay_alu instid0(VALU_DEP_1)
	v_or_b32_e32 v4, 0x400, v1
	ds_store_2addr_stride64_b32 v1, v3, v2 offset1:4
	s_waitcnt lgkmcnt(0)
	s_barrier
	buffer_gl0_inv
	v_cmpx_ne_u32_e32 0, v0
	s_cbranch_execz .LBB32_11
; %bb.8:
	v_add_nc_u32_e32 v5, -4, v1
	s_mov_b32 s3, exec_lo
	ds_load_b32 v5, v5
	s_waitcnt lgkmcnt(0)
	v_cmpx_eq_u32_e64 v3, v5
	s_cbranch_execz .LBB32_10
; %bb.9:
	v_add_nc_u32_e32 v5, -4, v4
	ds_load_b32 v5, v5
	s_waitcnt lgkmcnt(0)
	v_add_nc_u32_e32 v2, v5, v2
.LBB32_10:
	s_or_b32 exec_lo, exec_lo, s3
.LBB32_11:
	s_delay_alu instid0(SALU_CYCLE_1) | instskip(NEXT) | instid1(SALU_CYCLE_1)
	s_or_b32 exec_lo, exec_lo, s2
	s_mov_b32 s2, exec_lo
	s_barrier
	buffer_gl0_inv
	ds_store_b32 v4, v2
	s_waitcnt lgkmcnt(0)
	s_barrier
	buffer_gl0_inv
	v_cmpx_lt_u32_e32 1, v0
	s_cbranch_execz .LBB32_15
; %bb.12:
	v_add_nc_u32_e32 v5, -8, v1
	s_mov_b32 s3, exec_lo
	ds_load_b32 v5, v5
	s_waitcnt lgkmcnt(0)
	v_cmpx_eq_u32_e64 v3, v5
	s_cbranch_execz .LBB32_14
; %bb.13:
	v_add_nc_u32_e32 v5, -8, v4
	ds_load_b32 v5, v5
	s_waitcnt lgkmcnt(0)
	v_add_nc_u32_e32 v2, v5, v2
.LBB32_14:
	s_or_b32 exec_lo, exec_lo, s3
.LBB32_15:
	s_delay_alu instid0(SALU_CYCLE_1) | instskip(NEXT) | instid1(SALU_CYCLE_1)
	s_or_b32 exec_lo, exec_lo, s2
	s_mov_b32 s2, exec_lo
	s_barrier
	buffer_gl0_inv
	ds_store_b32 v4, v2
	s_waitcnt lgkmcnt(0)
	s_barrier
	buffer_gl0_inv
	v_cmpx_lt_u32_e32 3, v0
	;; [unrolled: 26-line block ×3, first 2 shown]
	s_cbranch_execz .LBB32_23
; %bb.20:
	v_subrev_nc_u32_e32 v5, 32, v1
	s_mov_b32 s3, exec_lo
	ds_load_b32 v5, v5
	s_waitcnt lgkmcnt(0)
	v_cmpx_eq_u32_e64 v3, v5
	s_cbranch_execz .LBB32_22
; %bb.21:
	v_subrev_nc_u32_e32 v5, 32, v4
	ds_load_b32 v5, v5
	s_waitcnt lgkmcnt(0)
	v_add_nc_u32_e32 v2, v5, v2
.LBB32_22:
	s_or_b32 exec_lo, exec_lo, s3
.LBB32_23:
	s_delay_alu instid0(SALU_CYCLE_1) | instskip(NEXT) | instid1(SALU_CYCLE_1)
	s_or_b32 exec_lo, exec_lo, s2
	s_mov_b32 s2, exec_lo
	s_barrier
	buffer_gl0_inv
	ds_store_b32 v4, v2
	s_waitcnt lgkmcnt(0)
	s_barrier
	buffer_gl0_inv
	v_cmpx_lt_u32_e32 15, v0
	s_cbranch_execz .LBB32_27
; %bb.24:
	v_subrev_nc_u32_e32 v5, 64, v1
	s_mov_b32 s3, exec_lo
	ds_load_b32 v5, v5
	s_waitcnt lgkmcnt(0)
	v_cmpx_eq_u32_e64 v3, v5
	s_cbranch_execz .LBB32_26
; %bb.25:
	v_subrev_nc_u32_e32 v5, 64, v4
	ds_load_b32 v5, v5
	s_waitcnt lgkmcnt(0)
	v_add_nc_u32_e32 v2, v5, v2
.LBB32_26:
	s_or_b32 exec_lo, exec_lo, s3
.LBB32_27:
	s_delay_alu instid0(SALU_CYCLE_1) | instskip(NEXT) | instid1(SALU_CYCLE_1)
	s_or_b32 exec_lo, exec_lo, s2
	s_mov_b32 s2, exec_lo
	s_barrier
	buffer_gl0_inv
	ds_store_b32 v4, v2
	s_waitcnt lgkmcnt(0)
	s_barrier
	buffer_gl0_inv
	v_cmpx_lt_u32_e32 31, v0
	s_cbranch_execz .LBB32_31
; %bb.28:
	v_add_nc_u32_e32 v5, 0xffffff80, v1
	s_mov_b32 s3, exec_lo
	ds_load_b32 v5, v5
	s_waitcnt lgkmcnt(0)
	v_cmpx_eq_u32_e64 v3, v5
	s_cbranch_execz .LBB32_30
; %bb.29:
	v_add_nc_u32_e32 v5, 0xffffff80, v4
	ds_load_b32 v5, v5
	s_waitcnt lgkmcnt(0)
	v_add_nc_u32_e32 v2, v5, v2
.LBB32_30:
	s_or_b32 exec_lo, exec_lo, s3
.LBB32_31:
	s_delay_alu instid0(SALU_CYCLE_1) | instskip(NEXT) | instid1(SALU_CYCLE_1)
	s_or_b32 exec_lo, exec_lo, s2
	s_mov_b32 s2, exec_lo
	s_barrier
	buffer_gl0_inv
	ds_store_b32 v4, v2
	s_waitcnt lgkmcnt(0)
	s_barrier
	buffer_gl0_inv
	v_cmpx_lt_u32_e32 63, v0
	s_cbranch_execz .LBB32_35
; %bb.32:
	v_add_nc_u32_e32 v5, 0xffffff00, v1
	s_mov_b32 s3, exec_lo
	ds_load_b32 v5, v5
	s_waitcnt lgkmcnt(0)
	v_cmpx_eq_u32_e64 v3, v5
	s_cbranch_execz .LBB32_34
; %bb.33:
	v_add_nc_u32_e32 v5, 0xffffff00, v4
	ds_load_b32 v5, v5
	s_waitcnt lgkmcnt(0)
	v_add_nc_u32_e32 v2, v5, v2
.LBB32_34:
	s_or_b32 exec_lo, exec_lo, s3
.LBB32_35:
	s_delay_alu instid0(SALU_CYCLE_1)
	s_or_b32 exec_lo, exec_lo, s2
	s_load_b64 s[2:3], s[0:1], 0x28
	s_mov_b32 s0, exec_lo
	s_waitcnt lgkmcnt(0)
	s_barrier
	buffer_gl0_inv
	ds_store_b32 v4, v2
	s_waitcnt lgkmcnt(0)
	s_barrier
	buffer_gl0_inv
	v_cmpx_lt_u32_e32 0x7f, v0
	s_cbranch_execz .LBB32_39
; %bb.36:
	v_add_nc_u32_e32 v5, 0xfffffe00, v1
	s_mov_b32 s1, exec_lo
	ds_load_b32 v5, v5
	s_waitcnt lgkmcnt(0)
	v_cmpx_eq_u32_e64 v3, v5
	s_cbranch_execz .LBB32_38
; %bb.37:
	v_add_nc_u32_e32 v5, 0xfffffe00, v4
	ds_load_b32 v5, v5
	s_waitcnt lgkmcnt(0)
	v_add_nc_u32_e32 v2, v5, v2
.LBB32_38:
	s_or_b32 exec_lo, exec_lo, s1
.LBB32_39:
	s_delay_alu instid0(SALU_CYCLE_1) | instskip(NEXT) | instid1(SALU_CYCLE_1)
	s_or_b32 exec_lo, exec_lo, s0
	s_mov_b32 s1, exec_lo
	s_barrier
	buffer_gl0_inv
	ds_store_b32 v4, v2
	s_waitcnt lgkmcnt(0)
	s_barrier
	buffer_gl0_inv
	v_cmpx_gt_u32_e32 0xff, v0
	s_cbranch_execz .LBB32_42
; %bb.40:
	ds_load_b32 v1, v1 offset:4
	v_cmp_lt_i32_e64 s0, -1, v3
	s_waitcnt lgkmcnt(0)
	v_cmp_ne_u32_e32 vcc_lo, v3, v1
	s_delay_alu instid0(VALU_DEP_2) | instskip(NEXT) | instid1(SALU_CYCLE_1)
	s_and_b32 s0, s0, vcc_lo
	s_and_b32 exec_lo, exec_lo, s0
	s_cbranch_execz .LBB32_42
; %bb.41:
	v_mov_b32_e32 v4, 0
	v_mul_lo_u32 v1, v2, s7
	s_delay_alu instid0(VALU_DEP_2) | instskip(NEXT) | instid1(VALU_DEP_1)
	v_lshlrev_b64 v[4:5], 2, v[3:4]
	v_add_co_u32 v4, vcc_lo, s2, v4
	s_delay_alu instid0(VALU_DEP_2)
	v_add_co_ci_u32_e32 v5, vcc_lo, s3, v5, vcc_lo
	global_atomic_add_u32 v[4:5], v1, off
.LBB32_42:
	s_or_b32 exec_lo, exec_lo, s1
	v_cmp_eq_u32_e32 vcc_lo, 0xff, v0
	v_cmp_lt_i32_e64 s0, -1, v3
	s_delay_alu instid0(VALU_DEP_1) | instskip(NEXT) | instid1(SALU_CYCLE_1)
	s_and_b32 s0, vcc_lo, s0
	s_and_saveexec_b32 s1, s0
	s_cbranch_execz .LBB32_44
; %bb.43:
	v_mov_b32_e32 v4, 0
	v_mul_lo_u32 v2, v2, s7
	s_delay_alu instid0(VALU_DEP_2) | instskip(NEXT) | instid1(VALU_DEP_1)
	v_lshlrev_b64 v[0:1], 2, v[3:4]
	v_add_co_u32 v0, vcc_lo, s2, v0
	s_delay_alu instid0(VALU_DEP_2)
	v_add_co_ci_u32_e32 v1, vcc_lo, s3, v1, vcc_lo
	global_atomic_add_u32 v[0:1], v2, off
.LBB32_44:
	s_nop 0
	s_sendmsg sendmsg(MSG_DEALLOC_VGPRS)
	s_endpgm
	.section	.rodata,"a",@progbits
	.p2align	6, 0x0
	.amdhsa_kernel _ZN9rocsparseL23coomvn_aos_atomic_loopsILj256ELj1EiaaiiEEvlNS_24const_host_device_scalarIT5_EEPKT1_PKT2_PKT3_PT4_21rocsparse_index_base_b
		.amdhsa_group_segment_fixed_size 2048
		.amdhsa_private_segment_fixed_size 0
		.amdhsa_kernarg_size 56
		.amdhsa_user_sgpr_count 15
		.amdhsa_user_sgpr_dispatch_ptr 0
		.amdhsa_user_sgpr_queue_ptr 0
		.amdhsa_user_sgpr_kernarg_segment_ptr 1
		.amdhsa_user_sgpr_dispatch_id 0
		.amdhsa_user_sgpr_private_segment_size 0
		.amdhsa_wavefront_size32 1
		.amdhsa_uses_dynamic_stack 0
		.amdhsa_enable_private_segment 0
		.amdhsa_system_sgpr_workgroup_id_x 1
		.amdhsa_system_sgpr_workgroup_id_y 0
		.amdhsa_system_sgpr_workgroup_id_z 0
		.amdhsa_system_sgpr_workgroup_info 0
		.amdhsa_system_vgpr_workitem_id 0
		.amdhsa_next_free_vgpr 7
		.amdhsa_next_free_sgpr 16
		.amdhsa_reserve_vcc 1
		.amdhsa_float_round_mode_32 0
		.amdhsa_float_round_mode_16_64 0
		.amdhsa_float_denorm_mode_32 3
		.amdhsa_float_denorm_mode_16_64 3
		.amdhsa_dx10_clamp 1
		.amdhsa_ieee_mode 1
		.amdhsa_fp16_overflow 0
		.amdhsa_workgroup_processor_mode 1
		.amdhsa_memory_ordered 1
		.amdhsa_forward_progress 0
		.amdhsa_shared_vgpr_count 0
		.amdhsa_exception_fp_ieee_invalid_op 0
		.amdhsa_exception_fp_denorm_src 0
		.amdhsa_exception_fp_ieee_div_zero 0
		.amdhsa_exception_fp_ieee_overflow 0
		.amdhsa_exception_fp_ieee_underflow 0
		.amdhsa_exception_fp_ieee_inexact 0
		.amdhsa_exception_int_div_zero 0
	.end_amdhsa_kernel
	.section	.text._ZN9rocsparseL23coomvn_aos_atomic_loopsILj256ELj1EiaaiiEEvlNS_24const_host_device_scalarIT5_EEPKT1_PKT2_PKT3_PT4_21rocsparse_index_base_b,"axG",@progbits,_ZN9rocsparseL23coomvn_aos_atomic_loopsILj256ELj1EiaaiiEEvlNS_24const_host_device_scalarIT5_EEPKT1_PKT2_PKT3_PT4_21rocsparse_index_base_b,comdat
.Lfunc_end32:
	.size	_ZN9rocsparseL23coomvn_aos_atomic_loopsILj256ELj1EiaaiiEEvlNS_24const_host_device_scalarIT5_EEPKT1_PKT2_PKT3_PT4_21rocsparse_index_base_b, .Lfunc_end32-_ZN9rocsparseL23coomvn_aos_atomic_loopsILj256ELj1EiaaiiEEvlNS_24const_host_device_scalarIT5_EEPKT1_PKT2_PKT3_PT4_21rocsparse_index_base_b
                                        ; -- End function
	.section	.AMDGPU.csdata,"",@progbits
; Kernel info:
; codeLenInByte = 1424
; NumSgprs: 18
; NumVgprs: 7
; ScratchSize: 0
; MemoryBound: 0
; FloatMode: 240
; IeeeMode: 1
; LDSByteSize: 2048 bytes/workgroup (compile time only)
; SGPRBlocks: 2
; VGPRBlocks: 0
; NumSGPRsForWavesPerEU: 18
; NumVGPRsForWavesPerEU: 7
; Occupancy: 16
; WaveLimiterHint : 1
; COMPUTE_PGM_RSRC2:SCRATCH_EN: 0
; COMPUTE_PGM_RSRC2:USER_SGPR: 15
; COMPUTE_PGM_RSRC2:TRAP_HANDLER: 0
; COMPUTE_PGM_RSRC2:TGID_X_EN: 1
; COMPUTE_PGM_RSRC2:TGID_Y_EN: 0
; COMPUTE_PGM_RSRC2:TGID_Z_EN: 0
; COMPUTE_PGM_RSRC2:TIDIG_COMP_CNT: 0
	.section	.text._ZN9rocsparseL17coomvt_aos_kernelILj1024EiaaiiEEv20rocsparse_operation_lNS_24const_host_device_scalarIT4_EEPKT0_PKT1_PKT2_PT3_21rocsparse_index_base_b,"axG",@progbits,_ZN9rocsparseL17coomvt_aos_kernelILj1024EiaaiiEEv20rocsparse_operation_lNS_24const_host_device_scalarIT4_EEPKT0_PKT1_PKT2_PT3_21rocsparse_index_base_b,comdat
	.globl	_ZN9rocsparseL17coomvt_aos_kernelILj1024EiaaiiEEv20rocsparse_operation_lNS_24const_host_device_scalarIT4_EEPKT0_PKT1_PKT2_PT3_21rocsparse_index_base_b ; -- Begin function _ZN9rocsparseL17coomvt_aos_kernelILj1024EiaaiiEEv20rocsparse_operation_lNS_24const_host_device_scalarIT4_EEPKT0_PKT1_PKT2_PT3_21rocsparse_index_base_b
	.p2align	8
	.type	_ZN9rocsparseL17coomvt_aos_kernelILj1024EiaaiiEEv20rocsparse_operation_lNS_24const_host_device_scalarIT4_EEPKT0_PKT1_PKT2_PT3_21rocsparse_index_base_b,@function
_ZN9rocsparseL17coomvt_aos_kernelILj1024EiaaiiEEv20rocsparse_operation_lNS_24const_host_device_scalarIT4_EEPKT0_PKT1_PKT2_PT3_21rocsparse_index_base_b: ; @_ZN9rocsparseL17coomvt_aos_kernelILj1024EiaaiiEEv20rocsparse_operation_lNS_24const_host_device_scalarIT4_EEPKT0_PKT1_PKT2_PT3_21rocsparse_index_base_b
; %bb.0:
	s_clause 0x1
	s_load_b64 s[2:3], s[0:1], 0x38
	s_load_b128 s[4:7], s[0:1], 0x8
	s_mov_b32 s8, 0
	s_waitcnt lgkmcnt(0)
	s_bitcmp0_b32 s3, 0
	s_cbranch_scc0 .LBB33_2
; %bb.1:
	s_load_b32 s3, s[6:7], 0x0
	s_and_not1_b32 vcc_lo, exec_lo, s8
	s_cbranch_vccz .LBB33_3
	s_branch .LBB33_4
.LBB33_2:
                                        ; implicit-def: $sgpr3
.LBB33_3:
	s_waitcnt lgkmcnt(0)
	s_mov_b32 s3, s6
.LBB33_4:
	s_waitcnt lgkmcnt(0)
	s_cmp_eq_u32 s3, 0
	s_cbranch_scc1 .LBB33_7
; %bb.5:
	s_load_b32 s6, s[0:1], 0x4c
	s_waitcnt lgkmcnt(0)
	s_and_b32 s6, s6, 0xffff
	s_delay_alu instid0(SALU_CYCLE_1) | instskip(SKIP_1) | instid1(VALU_DEP_1)
	v_mad_u64_u32 v[1:2], null, s15, s6, v[0:1]
	v_mov_b32_e32 v2, 0
	v_cmp_gt_i64_e32 vcc_lo, s[4:5], v[1:2]
	s_and_saveexec_b32 s4, vcc_lo
	s_cbranch_execz .LBB33_7
; %bb.6:
	s_load_b256 s[4:11], s[0:1], 0x18
	v_lshlrev_b64 v[2:3], 3, v[1:2]
	s_waitcnt lgkmcnt(0)
	s_delay_alu instid0(VALU_DEP_1) | instskip(NEXT) | instid1(VALU_DEP_2)
	v_add_co_u32 v2, vcc_lo, s4, v2
	v_add_co_ci_u32_e32 v3, vcc_lo, s5, v3, vcc_lo
	v_add_co_u32 v0, s0, s6, v1
	s_delay_alu instid0(VALU_DEP_1) | instskip(SKIP_4) | instid1(VALU_DEP_1)
	v_add_co_ci_u32_e64 v1, null, s7, 0, s0
	global_load_b64 v[2:3], v[2:3], off
	global_load_i8 v5, v[0:1], off
	s_waitcnt vmcnt(1)
	v_subrev_nc_u32_e32 v2, s2, v2
	v_ashrrev_i32_e32 v4, 31, v2
	v_add_co_u32 v0, vcc_lo, s8, v2
	s_delay_alu instid0(VALU_DEP_2) | instskip(SKIP_4) | instid1(VALU_DEP_2)
	v_add_co_ci_u32_e32 v1, vcc_lo, s9, v4, vcc_lo
	global_load_i8 v2, v[0:1], off
	v_subrev_nc_u32_e32 v0, s2, v3
	s_waitcnt vmcnt(1)
	v_mul_lo_u32 v3, s3, v5
	v_ashrrev_i32_e32 v1, 31, v0
	s_delay_alu instid0(VALU_DEP_1) | instskip(NEXT) | instid1(VALU_DEP_1)
	v_lshlrev_b64 v[0:1], 2, v[0:1]
	v_add_co_u32 v0, vcc_lo, s10, v0
	s_delay_alu instid0(VALU_DEP_2)
	v_add_co_ci_u32_e32 v1, vcc_lo, s11, v1, vcc_lo
	s_waitcnt vmcnt(0)
	v_mul_lo_u32 v2, v3, v2
	global_atomic_add_u32 v[0:1], v2, off
.LBB33_7:
	s_nop 0
	s_sendmsg sendmsg(MSG_DEALLOC_VGPRS)
	s_endpgm
	.section	.rodata,"a",@progbits
	.p2align	6, 0x0
	.amdhsa_kernel _ZN9rocsparseL17coomvt_aos_kernelILj1024EiaaiiEEv20rocsparse_operation_lNS_24const_host_device_scalarIT4_EEPKT0_PKT1_PKT2_PT3_21rocsparse_index_base_b
		.amdhsa_group_segment_fixed_size 0
		.amdhsa_private_segment_fixed_size 0
		.amdhsa_kernarg_size 320
		.amdhsa_user_sgpr_count 15
		.amdhsa_user_sgpr_dispatch_ptr 0
		.amdhsa_user_sgpr_queue_ptr 0
		.amdhsa_user_sgpr_kernarg_segment_ptr 1
		.amdhsa_user_sgpr_dispatch_id 0
		.amdhsa_user_sgpr_private_segment_size 0
		.amdhsa_wavefront_size32 1
		.amdhsa_uses_dynamic_stack 0
		.amdhsa_enable_private_segment 0
		.amdhsa_system_sgpr_workgroup_id_x 1
		.amdhsa_system_sgpr_workgroup_id_y 0
		.amdhsa_system_sgpr_workgroup_id_z 0
		.amdhsa_system_sgpr_workgroup_info 0
		.amdhsa_system_vgpr_workitem_id 0
		.amdhsa_next_free_vgpr 6
		.amdhsa_next_free_sgpr 16
		.amdhsa_reserve_vcc 1
		.amdhsa_float_round_mode_32 0
		.amdhsa_float_round_mode_16_64 0
		.amdhsa_float_denorm_mode_32 3
		.amdhsa_float_denorm_mode_16_64 3
		.amdhsa_dx10_clamp 1
		.amdhsa_ieee_mode 1
		.amdhsa_fp16_overflow 0
		.amdhsa_workgroup_processor_mode 1
		.amdhsa_memory_ordered 1
		.amdhsa_forward_progress 0
		.amdhsa_shared_vgpr_count 0
		.amdhsa_exception_fp_ieee_invalid_op 0
		.amdhsa_exception_fp_denorm_src 0
		.amdhsa_exception_fp_ieee_div_zero 0
		.amdhsa_exception_fp_ieee_overflow 0
		.amdhsa_exception_fp_ieee_underflow 0
		.amdhsa_exception_fp_ieee_inexact 0
		.amdhsa_exception_int_div_zero 0
	.end_amdhsa_kernel
	.section	.text._ZN9rocsparseL17coomvt_aos_kernelILj1024EiaaiiEEv20rocsparse_operation_lNS_24const_host_device_scalarIT4_EEPKT0_PKT1_PKT2_PT3_21rocsparse_index_base_b,"axG",@progbits,_ZN9rocsparseL17coomvt_aos_kernelILj1024EiaaiiEEv20rocsparse_operation_lNS_24const_host_device_scalarIT4_EEPKT0_PKT1_PKT2_PT3_21rocsparse_index_base_b,comdat
.Lfunc_end33:
	.size	_ZN9rocsparseL17coomvt_aos_kernelILj1024EiaaiiEEv20rocsparse_operation_lNS_24const_host_device_scalarIT4_EEPKT0_PKT1_PKT2_PT3_21rocsparse_index_base_b, .Lfunc_end33-_ZN9rocsparseL17coomvt_aos_kernelILj1024EiaaiiEEv20rocsparse_operation_lNS_24const_host_device_scalarIT4_EEPKT0_PKT1_PKT2_PT3_21rocsparse_index_base_b
                                        ; -- End function
	.section	.AMDGPU.csdata,"",@progbits
; Kernel info:
; codeLenInByte = 312
; NumSgprs: 18
; NumVgprs: 6
; ScratchSize: 0
; MemoryBound: 0
; FloatMode: 240
; IeeeMode: 1
; LDSByteSize: 0 bytes/workgroup (compile time only)
; SGPRBlocks: 2
; VGPRBlocks: 0
; NumSGPRsForWavesPerEU: 18
; NumVGPRsForWavesPerEU: 6
; Occupancy: 16
; WaveLimiterHint : 1
; COMPUTE_PGM_RSRC2:SCRATCH_EN: 0
; COMPUTE_PGM_RSRC2:USER_SGPR: 15
; COMPUTE_PGM_RSRC2:TRAP_HANDLER: 0
; COMPUTE_PGM_RSRC2:TGID_X_EN: 1
; COMPUTE_PGM_RSRC2:TGID_Y_EN: 0
; COMPUTE_PGM_RSRC2:TGID_Z_EN: 0
; COMPUTE_PGM_RSRC2:TIDIG_COMP_CNT: 0
	.section	.text._ZN9rocsparseL26coomvn_aos_segmented_loopsILj256EiaaiiEEvlT0_NS_24const_host_device_scalarIT4_EEPKS1_PKT1_PKT2_PT3_PS1_PS3_21rocsparse_index_base_b,"axG",@progbits,_ZN9rocsparseL26coomvn_aos_segmented_loopsILj256EiaaiiEEvlT0_NS_24const_host_device_scalarIT4_EEPKS1_PKT1_PKT2_PT3_PS1_PS3_21rocsparse_index_base_b,comdat
	.globl	_ZN9rocsparseL26coomvn_aos_segmented_loopsILj256EiaaiiEEvlT0_NS_24const_host_device_scalarIT4_EEPKS1_PKT1_PKT2_PT3_PS1_PS3_21rocsparse_index_base_b ; -- Begin function _ZN9rocsparseL26coomvn_aos_segmented_loopsILj256EiaaiiEEvlT0_NS_24const_host_device_scalarIT4_EEPKS1_PKT1_PKT2_PT3_PS1_PS3_21rocsparse_index_base_b
	.p2align	8
	.type	_ZN9rocsparseL26coomvn_aos_segmented_loopsILj256EiaaiiEEvlT0_NS_24const_host_device_scalarIT4_EEPKS1_PKT1_PKT2_PT3_PS1_PS3_21rocsparse_index_base_b,@function
_ZN9rocsparseL26coomvn_aos_segmented_loopsILj256EiaaiiEEvlT0_NS_24const_host_device_scalarIT4_EEPKS1_PKT1_PKT2_PT3_PS1_PS3_21rocsparse_index_base_b: ; @_ZN9rocsparseL26coomvn_aos_segmented_loopsILj256EiaaiiEEvlT0_NS_24const_host_device_scalarIT4_EEPKS1_PKT1_PKT2_PT3_PS1_PS3_21rocsparse_index_base_b
; %bb.0:
	s_clause 0x1
	s_load_b64 s[22:23], s[0:1], 0x48
	s_load_b64 s[2:3], s[0:1], 0x10
	s_mov_b32 s20, s15
	s_mov_b32 s4, 0
	s_waitcnt lgkmcnt(0)
	s_bitcmp0_b32 s23, 0
	s_cbranch_scc0 .LBB34_2
; %bb.1:
	s_load_b32 s23, s[2:3], 0x0
	s_and_not1_b32 vcc_lo, exec_lo, s4
	s_cbranch_vccz .LBB34_3
	s_branch .LBB34_4
.LBB34_2:
                                        ; implicit-def: $sgpr23
.LBB34_3:
	s_waitcnt lgkmcnt(0)
	s_mov_b32 s23, s2
.LBB34_4:
	s_waitcnt lgkmcnt(0)
	s_cmp_eq_u32 s23, 0
	s_cbranch_scc1 .LBB34_91
; %bb.5:
	s_clause 0x3
	s_load_b32 s21, s[0:1], 0x8
	s_load_b64 s[24:25], s[0:1], 0x0
	s_load_b128 s[16:19], s[0:1], 0x18
	s_load_b64 s[28:29], s[0:1], 0x28
	v_dual_mov_b32 v2, 0 :: v_dual_mov_b32 v3, -1
	s_waitcnt lgkmcnt(0)
	s_mul_i32 s2, s20, s21
	s_delay_alu instid0(SALU_CYCLE_1) | instskip(SKIP_1) | instid1(VALU_DEP_1)
	v_lshl_or_b32 v1, s2, 8, v0
	s_mov_b32 s2, exec_lo
	v_lshlrev_b64 v[5:6], 3, v[1:2]
	v_cmpx_gt_i64_e64 s[24:25], v[1:2]
	s_cbranch_execz .LBB34_7
; %bb.6:
	s_delay_alu instid0(VALU_DEP_2) | instskip(NEXT) | instid1(VALU_DEP_3)
	v_add_co_u32 v2, vcc_lo, s16, v5
	v_add_co_ci_u32_e32 v3, vcc_lo, s17, v6, vcc_lo
	global_load_b64 v[2:3], v[2:3], off slc dlc
	s_waitcnt vmcnt(0)
	v_mov_b32_e32 v8, v3
	v_ashrrev_i32_e32 v7, 31, v3
	v_add_co_u32 v3, s3, s18, v1
	s_delay_alu instid0(VALU_DEP_1) | instskip(NEXT) | instid1(VALU_DEP_4)
	v_add_co_ci_u32_e64 v4, null, s19, 0, s3
	v_add_co_u32 v8, vcc_lo, s28, v8
	s_delay_alu instid0(VALU_DEP_4) | instskip(SKIP_1) | instid1(VALU_DEP_2)
	v_add_co_ci_u32_e32 v9, vcc_lo, s29, v7, vcc_lo
	s_ashr_i32 s3, s22, 31
	v_sub_co_u32 v7, vcc_lo, v8, s22
	s_delay_alu instid0(VALU_DEP_2)
	v_subrev_co_ci_u32_e32 v8, vcc_lo, s3, v9, vcc_lo
	global_load_i8 v4, v[3:4], off slc dlc
	global_load_i8 v7, v[7:8], off
	v_subrev_nc_u32_e32 v3, s22, v2
	s_waitcnt vmcnt(0)
	v_mul_i32_i24_e32 v2, v7, v4
.LBB34_7:
	s_or_b32 exec_lo, exec_lo, s2
	v_lshlrev_b32_e32 v9, 2, v0
	v_cmp_eq_u32_e32 vcc_lo, 0, v0
	v_cmp_ne_u32_e64 s2, 0, v0
	s_delay_alu instid0(VALU_DEP_3)
	v_or_b32_e32 v10, 0x400, v9
	v_add_nc_u32_e32 v11, -4, v9
	ds_store_2addr_stride64_b32 v9, v3, v2 offset1:4
	s_waitcnt lgkmcnt(0)
	s_barrier
	buffer_gl0_inv
	s_and_saveexec_b32 s4, s2
	s_cbranch_execz .LBB34_11
; %bb.8:
	ds_load_b32 v4, v11
	s_mov_b32 s5, exec_lo
	s_waitcnt lgkmcnt(0)
	v_cmpx_eq_u32_e64 v3, v4
	s_cbranch_execz .LBB34_10
; %bb.9:
	v_add_nc_u32_e32 v4, -4, v10
	ds_load_b32 v4, v4
	s_waitcnt lgkmcnt(0)
	v_add_nc_u32_e32 v2, v4, v2
.LBB34_10:
	s_or_b32 exec_lo, exec_lo, s5
.LBB34_11:
	s_delay_alu instid0(SALU_CYCLE_1)
	s_or_b32 exec_lo, exec_lo, s4
	v_cmp_lt_u32_e64 s3, 1, v0
	v_add_nc_u32_e32 v12, -8, v9
	s_barrier
	buffer_gl0_inv
	ds_store_b32 v10, v2
	s_waitcnt lgkmcnt(0)
	s_barrier
	buffer_gl0_inv
	s_and_saveexec_b32 s5, s3
	s_cbranch_execz .LBB34_15
; %bb.12:
	ds_load_b32 v4, v12
	s_mov_b32 s6, exec_lo
	s_waitcnt lgkmcnt(0)
	v_cmpx_eq_u32_e64 v3, v4
	s_cbranch_execz .LBB34_14
; %bb.13:
	v_add_nc_u32_e32 v4, -8, v10
	ds_load_b32 v4, v4
	s_waitcnt lgkmcnt(0)
	v_add_nc_u32_e32 v2, v4, v2
.LBB34_14:
	s_or_b32 exec_lo, exec_lo, s6
.LBB34_15:
	s_delay_alu instid0(SALU_CYCLE_1)
	s_or_b32 exec_lo, exec_lo, s5
	v_cmp_lt_u32_e64 s4, 3, v0
	v_add_nc_u32_e32 v13, -16, v9
	s_barrier
	buffer_gl0_inv
	ds_store_b32 v10, v2
	s_waitcnt lgkmcnt(0)
	s_barrier
	buffer_gl0_inv
	s_and_saveexec_b32 s6, s4
	s_cbranch_execz .LBB34_19
; %bb.16:
	ds_load_b32 v4, v13
	s_mov_b32 s7, exec_lo
	s_waitcnt lgkmcnt(0)
	v_cmpx_eq_u32_e64 v3, v4
	s_cbranch_execz .LBB34_18
; %bb.17:
	v_add_nc_u32_e32 v4, -16, v10
	ds_load_b32 v4, v4
	s_waitcnt lgkmcnt(0)
	v_add_nc_u32_e32 v2, v4, v2
.LBB34_18:
	s_or_b32 exec_lo, exec_lo, s7
.LBB34_19:
	s_delay_alu instid0(SALU_CYCLE_1)
	s_or_b32 exec_lo, exec_lo, s6
	v_cmp_lt_u32_e64 s5, 7, v0
	v_subrev_nc_u32_e32 v14, 32, v9
	s_barrier
	buffer_gl0_inv
	ds_store_b32 v10, v2
	s_waitcnt lgkmcnt(0)
	s_barrier
	buffer_gl0_inv
	s_and_saveexec_b32 s7, s5
	s_cbranch_execz .LBB34_23
; %bb.20:
	ds_load_b32 v4, v14
	s_mov_b32 s8, exec_lo
	s_waitcnt lgkmcnt(0)
	v_cmpx_eq_u32_e64 v3, v4
	s_cbranch_execz .LBB34_22
; %bb.21:
	v_subrev_nc_u32_e32 v4, 32, v10
	ds_load_b32 v4, v4
	s_waitcnt lgkmcnt(0)
	v_add_nc_u32_e32 v2, v4, v2
.LBB34_22:
	s_or_b32 exec_lo, exec_lo, s8
.LBB34_23:
	s_delay_alu instid0(SALU_CYCLE_1)
	s_or_b32 exec_lo, exec_lo, s7
	v_cmp_lt_u32_e64 s6, 15, v0
	v_subrev_nc_u32_e32 v15, 64, v9
	s_barrier
	buffer_gl0_inv
	ds_store_b32 v10, v2
	s_waitcnt lgkmcnt(0)
	s_barrier
	buffer_gl0_inv
	s_and_saveexec_b32 s8, s6
	s_cbranch_execz .LBB34_27
; %bb.24:
	ds_load_b32 v4, v15
	s_mov_b32 s9, exec_lo
	s_waitcnt lgkmcnt(0)
	v_cmpx_eq_u32_e64 v3, v4
	s_cbranch_execz .LBB34_26
; %bb.25:
	v_subrev_nc_u32_e32 v4, 64, v10
	ds_load_b32 v4, v4
	s_waitcnt lgkmcnt(0)
	v_add_nc_u32_e32 v2, v4, v2
.LBB34_26:
	s_or_b32 exec_lo, exec_lo, s9
.LBB34_27:
	s_delay_alu instid0(SALU_CYCLE_1)
	s_or_b32 exec_lo, exec_lo, s8
	v_cmp_lt_u32_e64 s7, 31, v0
	v_add_nc_u32_e32 v16, 0xffffff80, v9
	s_barrier
	buffer_gl0_inv
	ds_store_b32 v10, v2
	s_waitcnt lgkmcnt(0)
	s_barrier
	buffer_gl0_inv
	s_and_saveexec_b32 s9, s7
	s_cbranch_execz .LBB34_31
; %bb.28:
	ds_load_b32 v4, v16
	s_mov_b32 s10, exec_lo
	s_waitcnt lgkmcnt(0)
	v_cmpx_eq_u32_e64 v3, v4
	s_cbranch_execz .LBB34_30
; %bb.29:
	v_add_nc_u32_e32 v4, 0xffffff80, v10
	ds_load_b32 v4, v4
	s_waitcnt lgkmcnt(0)
	v_add_nc_u32_e32 v2, v4, v2
.LBB34_30:
	s_or_b32 exec_lo, exec_lo, s10
.LBB34_31:
	s_delay_alu instid0(SALU_CYCLE_1)
	s_or_b32 exec_lo, exec_lo, s9
	v_cmp_lt_u32_e64 s8, 63, v0
	v_add_nc_u32_e32 v17, 0xffffff00, v9
	s_barrier
	buffer_gl0_inv
	ds_store_b32 v10, v2
	s_waitcnt lgkmcnt(0)
	s_barrier
	buffer_gl0_inv
	s_and_saveexec_b32 s10, s8
	s_cbranch_execz .LBB34_35
; %bb.32:
	ds_load_b32 v4, v17
	s_mov_b32 s11, exec_lo
	s_waitcnt lgkmcnt(0)
	v_cmpx_eq_u32_e64 v3, v4
	s_cbranch_execz .LBB34_34
; %bb.33:
	v_add_nc_u32_e32 v4, 0xffffff00, v10
	ds_load_b32 v4, v4
	s_waitcnt lgkmcnt(0)
	v_add_nc_u32_e32 v2, v4, v2
.LBB34_34:
	s_or_b32 exec_lo, exec_lo, s11
.LBB34_35:
	s_delay_alu instid0(SALU_CYCLE_1)
	s_or_b32 exec_lo, exec_lo, s10
	s_load_b64 s[26:27], s[0:1], 0x30
	v_cmp_lt_u32_e64 s9, 0x7f, v0
	v_add_nc_u32_e32 v18, 0xfffffe00, v9
	s_waitcnt lgkmcnt(0)
	s_barrier
	buffer_gl0_inv
	ds_store_b32 v10, v2
	s_waitcnt lgkmcnt(0)
	s_barrier
	buffer_gl0_inv
	s_and_saveexec_b32 s11, s9
	s_cbranch_execz .LBB34_39
; %bb.36:
	ds_load_b32 v4, v18
	s_mov_b32 s12, exec_lo
	s_waitcnt lgkmcnt(0)
	v_cmpx_eq_u32_e64 v3, v4
	s_cbranch_execz .LBB34_38
; %bb.37:
	v_add_nc_u32_e32 v4, 0xfffffe00, v10
	ds_load_b32 v4, v4
	s_waitcnt lgkmcnt(0)
	v_add_nc_u32_e32 v2, v4, v2
.LBB34_38:
	s_or_b32 exec_lo, exec_lo, s12
.LBB34_39:
	s_delay_alu instid0(SALU_CYCLE_1)
	s_or_b32 exec_lo, exec_lo, s11
	v_cmp_gt_u32_e64 s10, 0xff, v0
	s_barrier
	buffer_gl0_inv
	ds_store_b32 v10, v2
	s_waitcnt lgkmcnt(0)
	s_barrier
	buffer_gl0_inv
	s_and_saveexec_b32 s13, s10
	s_cbranch_execz .LBB34_42
; %bb.40:
	ds_load_b32 v4, v9 offset:4
	v_cmp_lt_i32_e64 s12, -1, v3
	s_waitcnt lgkmcnt(0)
	v_cmp_ne_u32_e64 s11, v3, v4
	s_delay_alu instid0(VALU_DEP_1) | instskip(NEXT) | instid1(SALU_CYCLE_1)
	s_and_b32 s11, s12, s11
	s_and_b32 exec_lo, exec_lo, s11
	s_cbranch_execz .LBB34_42
; %bb.41:
	v_mov_b32_e32 v4, 0
	s_delay_alu instid0(VALU_DEP_1) | instskip(NEXT) | instid1(VALU_DEP_1)
	v_lshlrev_b64 v[7:8], 2, v[3:4]
	v_add_co_u32 v7, s11, s26, v7
	s_delay_alu instid0(VALU_DEP_1)
	v_add_co_ci_u32_e64 v8, s11, s27, v8, s11
	global_load_b32 v4, v[7:8], off
	s_waitcnt vmcnt(0)
	v_mad_u64_u32 v[19:20], null, v2, s23, v[4:5]
	global_store_b32 v[7:8], v19, off
.LBB34_42:
	s_or_b32 exec_lo, exec_lo, s13
	s_load_b128 s[12:15], s[0:1], 0x38
	s_cmp_lt_i32 s21, 2
	s_cbranch_scc1 .LBB34_89
; %bb.43:
	v_add_co_u32 v2, s0, v5, s16
	s_delay_alu instid0(VALU_DEP_1) | instskip(SKIP_1) | instid1(VALU_DEP_1)
	v_add_co_ci_u32_e64 v3, s0, s17, v6, s0
	v_add_co_u32 v5, s0, 0x100, v1
	v_add_co_ci_u32_e64 v6, null, 0, 0, s0
	s_delay_alu instid0(VALU_DEP_4)
	v_add_co_u32 v7, s0, 0x800, v2
	v_dual_mov_b32 v4, 0 :: v_dual_add_nc_u32 v19, -4, v10
	v_add_nc_u32_e32 v20, -8, v10
	v_add_nc_u32_e32 v21, -16, v10
	v_subrev_nc_u32_e32 v22, 32, v10
	v_subrev_nc_u32_e32 v23, 64, v10
	v_add_nc_u32_e32 v24, 0xffffff80, v10
	v_add_nc_u32_e32 v25, 0xffffff00, v10
	;; [unrolled: 1-line block ×3, first 2 shown]
	v_add_co_ci_u32_e64 v8, s0, 0, v3, s0
	s_ashr_i32 s1, s22, 31
	s_sub_u32 s11, s28, s22
	s_subb_u32 s28, s29, s1
	s_add_i32 s21, s21, -1
	s_mov_b32 s17, 0
	s_branch .LBB34_45
.LBB34_44:                              ;   in Loop: Header=BB34_45 Depth=1
	s_or_b32 exec_lo, exec_lo, s16
	v_add_co_u32 v5, s0, 0x100, v5
	s_delay_alu instid0(VALU_DEP_1) | instskip(SKIP_1) | instid1(VALU_DEP_1)
	v_add_co_ci_u32_e64 v6, s0, 0, v6, s0
	v_add_co_u32 v7, s0, 0x800, v7
	v_add_co_ci_u32_e64 v8, s0, 0, v8, s0
	s_add_i32 s21, s21, -1
	s_delay_alu instid0(SALU_CYCLE_1)
	s_cmp_eq_u32 s21, 0
	s_cbranch_scc1 .LBB34_89
.LBB34_45:                              ; =>This Inner Loop Header: Depth=1
	v_dual_mov_b32 v3, -1 :: v_dual_mov_b32 v2, 0
	s_mov_b32 s1, exec_lo
	v_cmpx_gt_i64_e64 s[24:25], v[5:6]
	s_cbranch_execz .LBB34_47
; %bb.46:                               ;   in Loop: Header=BB34_45 Depth=1
	global_load_b64 v[1:2], v[7:8], off slc dlc
	s_waitcnt vmcnt(0)
	v_mov_b32_e32 v27, v2
	v_ashrrev_i32_e32 v28, 31, v2
	v_add_co_u32 v2, s0, s18, v5
	s_delay_alu instid0(VALU_DEP_1) | instskip(NEXT) | instid1(VALU_DEP_4)
	v_add_co_ci_u32_e64 v3, s0, s19, v6, s0
	v_add_co_u32 v27, s0, s11, v27
	s_delay_alu instid0(VALU_DEP_1)
	v_add_co_ci_u32_e64 v28, s0, s28, v28, s0
	global_load_i8 v2, v[2:3], off slc dlc
	global_load_i8 v27, v[27:28], off
	v_subrev_nc_u32_e32 v3, s22, v1
	s_waitcnt vmcnt(0)
	v_mul_i32_i24_e32 v2, v27, v2
.LBB34_47:                              ;   in Loop: Header=BB34_45 Depth=1
	s_or_b32 exec_lo, exec_lo, s1
	s_and_saveexec_b32 s1, vcc_lo
	s_cbranch_execz .LBB34_54
; %bb.48:                               ;   in Loop: Header=BB34_45 Depth=1
	ds_load_b32 v1, v4 offset:1020
	s_waitcnt lgkmcnt(0)
	v_readfirstlane_b32 s16, v1
	v_cmp_ne_u32_e64 s0, v3, v1
	s_delay_alu instid0(VALU_DEP_1) | instskip(NEXT) | instid1(SALU_CYCLE_1)
	s_and_saveexec_b32 s29, s0
	s_xor_b32 s0, exec_lo, s29
	s_cbranch_execz .LBB34_51
; %bb.49:                               ;   in Loop: Header=BB34_45 Depth=1
	s_cmp_lt_i32 s16, 0
	s_cbranch_scc1 .LBB34_51
; %bb.50:                               ;   in Loop: Header=BB34_45 Depth=1
	s_lshl_b64 s[30:31], s[16:17], 2
	ds_load_b32 v27, v4 offset:2044
	s_add_u32 s30, s26, s30
	s_addc_u32 s31, s27, s31
	global_load_b32 v1, v4, s[30:31]
	s_waitcnt lgkmcnt(0)
	v_mul_lo_u32 v27, v27, s23
	s_waitcnt vmcnt(0)
	s_delay_alu instid0(VALU_DEP_1)
	v_add_nc_u32_e32 v1, v27, v1
	global_store_b32 v4, v1, s[30:31]
.LBB34_51:                              ;   in Loop: Header=BB34_45 Depth=1
	s_and_not1_saveexec_b32 s0, s0
	s_cbranch_execz .LBB34_53
; %bb.52:                               ;   in Loop: Header=BB34_45 Depth=1
	ds_load_b32 v1, v4 offset:2044
	s_waitcnt lgkmcnt(0)
	v_add_nc_u32_e32 v2, v1, v2
.LBB34_53:                              ;   in Loop: Header=BB34_45 Depth=1
	s_or_b32 exec_lo, exec_lo, s0
.LBB34_54:                              ;   in Loop: Header=BB34_45 Depth=1
	s_delay_alu instid0(SALU_CYCLE_1)
	s_or_b32 exec_lo, exec_lo, s1
	s_waitcnt lgkmcnt(0)
	s_waitcnt_vscnt null, 0x0
	s_barrier
	buffer_gl0_inv
	ds_store_b32 v9, v3
	ds_store_b32 v10, v2
	s_waitcnt lgkmcnt(0)
	s_barrier
	buffer_gl0_inv
	s_and_saveexec_b32 s1, s2
	s_cbranch_execz .LBB34_58
; %bb.55:                               ;   in Loop: Header=BB34_45 Depth=1
	ds_load_b32 v1, v11
	s_mov_b32 s16, exec_lo
	s_waitcnt lgkmcnt(0)
	v_cmpx_eq_u32_e64 v3, v1
	s_cbranch_execz .LBB34_57
; %bb.56:                               ;   in Loop: Header=BB34_45 Depth=1
	ds_load_b32 v1, v19
	s_waitcnt lgkmcnt(0)
	v_add_nc_u32_e32 v2, v1, v2
.LBB34_57:                              ;   in Loop: Header=BB34_45 Depth=1
	s_or_b32 exec_lo, exec_lo, s16
.LBB34_58:                              ;   in Loop: Header=BB34_45 Depth=1
	s_delay_alu instid0(SALU_CYCLE_1)
	s_or_b32 exec_lo, exec_lo, s1
	s_barrier
	buffer_gl0_inv
	ds_store_b32 v10, v2
	s_waitcnt lgkmcnt(0)
	s_barrier
	buffer_gl0_inv
	s_and_saveexec_b32 s1, s3
	s_cbranch_execz .LBB34_62
; %bb.59:                               ;   in Loop: Header=BB34_45 Depth=1
	ds_load_b32 v1, v12
	s_mov_b32 s16, exec_lo
	s_waitcnt lgkmcnt(0)
	v_cmpx_eq_u32_e64 v3, v1
	s_cbranch_execz .LBB34_61
; %bb.60:                               ;   in Loop: Header=BB34_45 Depth=1
	ds_load_b32 v1, v20
	s_waitcnt lgkmcnt(0)
	v_add_nc_u32_e32 v2, v1, v2
.LBB34_61:                              ;   in Loop: Header=BB34_45 Depth=1
	s_or_b32 exec_lo, exec_lo, s16
.LBB34_62:                              ;   in Loop: Header=BB34_45 Depth=1
	s_delay_alu instid0(SALU_CYCLE_1)
	s_or_b32 exec_lo, exec_lo, s1
	s_barrier
	buffer_gl0_inv
	;; [unrolled: 23-line block ×8, first 2 shown]
	ds_store_b32 v10, v2
	s_waitcnt lgkmcnt(0)
	s_barrier
	buffer_gl0_inv
	s_and_saveexec_b32 s16, s10
	s_cbranch_execz .LBB34_44
; %bb.87:                               ;   in Loop: Header=BB34_45 Depth=1
	ds_load_b32 v1, v9 offset:4
	v_cmp_lt_i32_e64 s1, -1, v3
	s_waitcnt lgkmcnt(0)
	v_cmp_ne_u32_e64 s0, v3, v1
	s_delay_alu instid0(VALU_DEP_1) | instskip(NEXT) | instid1(SALU_CYCLE_1)
	s_and_b32 s0, s1, s0
	s_and_b32 exec_lo, exec_lo, s0
	s_cbranch_execz .LBB34_44
; %bb.88:                               ;   in Loop: Header=BB34_45 Depth=1
	v_lshlrev_b64 v[27:28], 2, v[3:4]
	s_delay_alu instid0(VALU_DEP_1) | instskip(NEXT) | instid1(VALU_DEP_1)
	v_add_co_u32 v27, s0, s26, v27
	v_add_co_ci_u32_e64 v28, s0, s27, v28, s0
	global_load_b32 v1, v[27:28], off
	s_waitcnt vmcnt(0)
	v_mad_u64_u32 v[29:30], null, v2, s23, v[1:2]
	global_store_b32 v[27:28], v29, off
	s_branch .LBB34_44
.LBB34_89:
	s_mov_b32 s0, exec_lo
	v_cmpx_eq_u32_e32 0xff, v0
	s_cbranch_execz .LBB34_91
; %bb.90:
	s_mov_b32 s21, 0
	v_mul_lo_u32 v0, v2, s23
	s_lshl_b64 s[0:1], s[20:21], 2
	v_mov_b32_e32 v1, 0
	s_waitcnt lgkmcnt(0)
	s_add_u32 s2, s12, s0
	s_addc_u32 s3, s13, s1
	s_add_u32 s0, s14, s0
	s_addc_u32 s1, s15, s1
	s_clause 0x1
	global_store_b32 v1, v3, s[2:3] glc slc dlc
	global_store_b32 v1, v0, s[0:1] glc slc dlc
.LBB34_91:
	s_nop 0
	s_sendmsg sendmsg(MSG_DEALLOC_VGPRS)
	s_endpgm
	.section	.rodata,"a",@progbits
	.p2align	6, 0x0
	.amdhsa_kernel _ZN9rocsparseL26coomvn_aos_segmented_loopsILj256EiaaiiEEvlT0_NS_24const_host_device_scalarIT4_EEPKS1_PKT1_PKT2_PT3_PS1_PS3_21rocsparse_index_base_b
		.amdhsa_group_segment_fixed_size 2048
		.amdhsa_private_segment_fixed_size 0
		.amdhsa_kernarg_size 80
		.amdhsa_user_sgpr_count 15
		.amdhsa_user_sgpr_dispatch_ptr 0
		.amdhsa_user_sgpr_queue_ptr 0
		.amdhsa_user_sgpr_kernarg_segment_ptr 1
		.amdhsa_user_sgpr_dispatch_id 0
		.amdhsa_user_sgpr_private_segment_size 0
		.amdhsa_wavefront_size32 1
		.amdhsa_uses_dynamic_stack 0
		.amdhsa_enable_private_segment 0
		.amdhsa_system_sgpr_workgroup_id_x 1
		.amdhsa_system_sgpr_workgroup_id_y 0
		.amdhsa_system_sgpr_workgroup_id_z 0
		.amdhsa_system_sgpr_workgroup_info 0
		.amdhsa_system_vgpr_workitem_id 0
		.amdhsa_next_free_vgpr 31
		.amdhsa_next_free_sgpr 32
		.amdhsa_reserve_vcc 1
		.amdhsa_float_round_mode_32 0
		.amdhsa_float_round_mode_16_64 0
		.amdhsa_float_denorm_mode_32 3
		.amdhsa_float_denorm_mode_16_64 3
		.amdhsa_dx10_clamp 1
		.amdhsa_ieee_mode 1
		.amdhsa_fp16_overflow 0
		.amdhsa_workgroup_processor_mode 1
		.amdhsa_memory_ordered 1
		.amdhsa_forward_progress 0
		.amdhsa_shared_vgpr_count 0
		.amdhsa_exception_fp_ieee_invalid_op 0
		.amdhsa_exception_fp_denorm_src 0
		.amdhsa_exception_fp_ieee_div_zero 0
		.amdhsa_exception_fp_ieee_overflow 0
		.amdhsa_exception_fp_ieee_underflow 0
		.amdhsa_exception_fp_ieee_inexact 0
		.amdhsa_exception_int_div_zero 0
	.end_amdhsa_kernel
	.section	.text._ZN9rocsparseL26coomvn_aos_segmented_loopsILj256EiaaiiEEvlT0_NS_24const_host_device_scalarIT4_EEPKS1_PKT1_PKT2_PT3_PS1_PS3_21rocsparse_index_base_b,"axG",@progbits,_ZN9rocsparseL26coomvn_aos_segmented_loopsILj256EiaaiiEEvlT0_NS_24const_host_device_scalarIT4_EEPKS1_PKT1_PKT2_PT3_PS1_PS3_21rocsparse_index_base_b,comdat
.Lfunc_end34:
	.size	_ZN9rocsparseL26coomvn_aos_segmented_loopsILj256EiaaiiEEvlT0_NS_24const_host_device_scalarIT4_EEPKS1_PKT1_PKT2_PT3_PS1_PS3_21rocsparse_index_base_b, .Lfunc_end34-_ZN9rocsparseL26coomvn_aos_segmented_loopsILj256EiaaiiEEvlT0_NS_24const_host_device_scalarIT4_EEPKS1_PKT1_PKT2_PT3_PS1_PS3_21rocsparse_index_base_b
                                        ; -- End function
	.section	.AMDGPU.csdata,"",@progbits
; Kernel info:
; codeLenInByte = 2972
; NumSgprs: 34
; NumVgprs: 31
; ScratchSize: 0
; MemoryBound: 0
; FloatMode: 240
; IeeeMode: 1
; LDSByteSize: 2048 bytes/workgroup (compile time only)
; SGPRBlocks: 4
; VGPRBlocks: 3
; NumSGPRsForWavesPerEU: 34
; NumVGPRsForWavesPerEU: 31
; Occupancy: 16
; WaveLimiterHint : 1
; COMPUTE_PGM_RSRC2:SCRATCH_EN: 0
; COMPUTE_PGM_RSRC2:USER_SGPR: 15
; COMPUTE_PGM_RSRC2:TRAP_HANDLER: 0
; COMPUTE_PGM_RSRC2:TGID_X_EN: 1
; COMPUTE_PGM_RSRC2:TGID_Y_EN: 0
; COMPUTE_PGM_RSRC2:TGID_Z_EN: 0
; COMPUTE_PGM_RSRC2:TIDIG_COMP_CNT: 0
	.section	.text._ZN9rocsparseL29coomvn_segmented_loops_reduceILj256EiiiEEvT0_NS_24const_host_device_scalarIT2_EEPKS1_PKS3_PT1_b,"axG",@progbits,_ZN9rocsparseL29coomvn_segmented_loops_reduceILj256EiiiEEvT0_NS_24const_host_device_scalarIT2_EEPKS1_PKS3_PT1_b,comdat
	.globl	_ZN9rocsparseL29coomvn_segmented_loops_reduceILj256EiiiEEvT0_NS_24const_host_device_scalarIT2_EEPKS1_PKS3_PT1_b ; -- Begin function _ZN9rocsparseL29coomvn_segmented_loops_reduceILj256EiiiEEvT0_NS_24const_host_device_scalarIT2_EEPKS1_PKS3_PT1_b
	.p2align	8
	.type	_ZN9rocsparseL29coomvn_segmented_loops_reduceILj256EiiiEEvT0_NS_24const_host_device_scalarIT2_EEPKS1_PKS3_PT1_b,@function
_ZN9rocsparseL29coomvn_segmented_loops_reduceILj256EiiiEEvT0_NS_24const_host_device_scalarIT2_EEPKS1_PKS3_PT1_b: ; @_ZN9rocsparseL29coomvn_segmented_loops_reduceILj256EiiiEEvT0_NS_24const_host_device_scalarIT2_EEPKS1_PKS3_PT1_b
; %bb.0:
	s_clause 0x1
	s_load_b32 s4, s[0:1], 0x28
	s_load_b64 s[2:3], s[0:1], 0x8
	s_waitcnt lgkmcnt(0)
	s_bitcmp0_b32 s4, 0
	s_mov_b32 s4, 0
	s_cbranch_scc0 .LBB35_2
; %bb.1:
	s_load_b32 s3, s[2:3], 0x0
	s_and_not1_b32 vcc_lo, exec_lo, s4
	s_cbranch_vccz .LBB35_3
	s_branch .LBB35_4
.LBB35_2:
                                        ; implicit-def: $sgpr3
.LBB35_3:
	s_waitcnt lgkmcnt(0)
	s_mov_b32 s3, s2
.LBB35_4:
	s_waitcnt lgkmcnt(0)
	s_cmp_eq_u32 s3, 0
	s_cbranch_scc1 .LBB35_46
; %bb.5:
	s_load_b32 s16, s[0:1], 0x0
	s_waitcnt lgkmcnt(0)
	s_cmp_lt_i32 s16, 1
	s_cbranch_scc1 .LBB35_46
; %bb.6:
	s_clause 0x1
	s_load_b128 s[12:15], s[0:1], 0x10
	s_load_b64 s[10:11], s[0:1], 0x20
	v_dual_mov_b32 v2, 0 :: v_dual_lshlrev_b32 v5, 2, v0
	v_cmp_ne_u32_e32 vcc_lo, 0, v0
	v_cmp_lt_u32_e64 s0, 1, v0
	v_cmp_lt_u32_e64 s1, 3, v0
	s_delay_alu instid0(VALU_DEP_4)
	v_or_b32_e32 v6, 0x400, v5
	v_add_nc_u32_e32 v7, -4, v5
	v_add_nc_u32_e32 v8, 0x3fc, v5
	v_add_nc_u32_e32 v9, -8, v5
	v_add_nc_u32_e32 v10, 0x3f8, v5
	;; [unrolled: 2-line block ×3, first 2 shown]
	v_cmp_lt_u32_e64 s2, 7, v0
	v_subrev_nc_u32_e32 v13, 32, v5
	v_add_nc_u32_e32 v14, 0x3e0, v5
	v_cmp_lt_u32_e64 s3, 15, v0
	v_subrev_nc_u32_e32 v15, 64, v5
	v_add_nc_u32_e32 v16, 0x3c0, v5
	v_cmp_lt_u32_e64 s4, 31, v0
	v_add_nc_u32_e32 v17, 0xffffff80, v5
	v_add_nc_u32_e32 v18, 0x380, v5
	v_cmp_lt_u32_e64 s5, 63, v0
	v_add_nc_u32_e32 v19, 0xffffff00, v5
	v_add_nc_u32_e32 v20, 0x300, v5
	v_cmp_lt_u32_e64 s6, 0x7f, v0
	v_add_nc_u32_e32 v21, 0xfffffe00, v5
	v_add_nc_u32_e32 v22, 0x200, v5
	v_cmp_gt_u32_e64 s7, 0xff, v0
	s_mov_b32 s17, 0
	s_branch .LBB35_8
.LBB35_7:                               ;   in Loop: Header=BB35_8 Depth=1
	s_or_b32 exec_lo, exec_lo, s9
	s_addk_i32 s17, 0x100
	s_waitcnt_vscnt null, 0x0
	s_cmp_lt_i32 s17, s16
	s_barrier
	buffer_gl0_inv
	s_cbranch_scc0 .LBB35_46
.LBB35_8:                               ; =>This Inner Loop Header: Depth=1
	v_dual_mov_b32 v4, -1 :: v_dual_add_nc_u32 v3, s17, v0
	v_mov_b32_e32 v23, 0
	s_mov_b32 s9, exec_lo
	s_delay_alu instid0(VALU_DEP_2)
	v_cmpx_gt_i32_e64 s16, v3
	s_cbranch_execz .LBB35_10
; %bb.9:                                ;   in Loop: Header=BB35_8 Depth=1
	v_ashrrev_i32_e32 v4, 31, v3
	s_delay_alu instid0(VALU_DEP_1) | instskip(SKIP_1) | instid1(VALU_DEP_1)
	v_lshlrev_b64 v[3:4], 2, v[3:4]
	s_waitcnt lgkmcnt(0)
	v_add_co_u32 v23, s8, s12, v3
	s_delay_alu instid0(VALU_DEP_1) | instskip(SKIP_1) | instid1(VALU_DEP_1)
	v_add_co_ci_u32_e64 v24, s8, s13, v4, s8
	v_add_co_u32 v25, s8, s14, v3
	v_add_co_ci_u32_e64 v26, s8, s15, v4, s8
	global_load_b32 v4, v[23:24], off
	global_load_b32 v23, v[25:26], off
.LBB35_10:                              ;   in Loop: Header=BB35_8 Depth=1
	s_or_b32 exec_lo, exec_lo, s9
	v_mov_b32_e32 v1, 0
	v_mov_b32_e32 v3, 0
	s_waitcnt vmcnt(1)
	ds_store_b32 v5, v4
	s_waitcnt vmcnt(0)
	ds_store_b32 v6, v23
	s_waitcnt lgkmcnt(0)
	s_barrier
	buffer_gl0_inv
	s_and_saveexec_b32 s9, vcc_lo
	s_cbranch_execz .LBB35_14
; %bb.11:                               ;   in Loop: Header=BB35_8 Depth=1
	ds_load_2addr_b32 v[3:4], v7 offset1:1
	s_waitcnt lgkmcnt(0)
	v_cmp_eq_u32_e64 s8, v4, v3
	v_mov_b32_e32 v3, 0
	s_delay_alu instid0(VALU_DEP_2)
	s_and_saveexec_b32 s18, s8
	s_cbranch_execz .LBB35_13
; %bb.12:                               ;   in Loop: Header=BB35_8 Depth=1
	ds_load_b32 v3, v8
.LBB35_13:                              ;   in Loop: Header=BB35_8 Depth=1
	s_or_b32 exec_lo, exec_lo, s18
.LBB35_14:                              ;   in Loop: Header=BB35_8 Depth=1
	s_delay_alu instid0(SALU_CYCLE_1)
	s_or_b32 exec_lo, exec_lo, s9
	s_waitcnt lgkmcnt(0)
	s_barrier
	buffer_gl0_inv
	ds_load_b32 v4, v6
	s_waitcnt lgkmcnt(0)
	v_add_nc_u32_e32 v3, v4, v3
	ds_store_b32 v6, v3
	s_waitcnt lgkmcnt(0)
	s_barrier
	buffer_gl0_inv
	s_and_saveexec_b32 s9, s0
	s_cbranch_execz .LBB35_18
; %bb.15:                               ;   in Loop: Header=BB35_8 Depth=1
	ds_load_b32 v1, v5
	ds_load_b32 v3, v9
	s_waitcnt lgkmcnt(0)
	v_cmp_eq_u32_e64 s8, v1, v3
	v_mov_b32_e32 v1, 0
	s_delay_alu instid0(VALU_DEP_2)
	s_and_saveexec_b32 s18, s8
	s_cbranch_execz .LBB35_17
; %bb.16:                               ;   in Loop: Header=BB35_8 Depth=1
	ds_load_b32 v1, v10
.LBB35_17:                              ;   in Loop: Header=BB35_8 Depth=1
	s_or_b32 exec_lo, exec_lo, s18
.LBB35_18:                              ;   in Loop: Header=BB35_8 Depth=1
	s_delay_alu instid0(SALU_CYCLE_1)
	s_or_b32 exec_lo, exec_lo, s9
	s_waitcnt lgkmcnt(0)
	s_barrier
	buffer_gl0_inv
	ds_load_b32 v3, v6
	s_waitcnt lgkmcnt(0)
	v_dual_mov_b32 v1, 0 :: v_dual_add_nc_u32 v4, v3, v1
	v_mov_b32_e32 v3, 0
	ds_store_b32 v6, v4
	s_waitcnt lgkmcnt(0)
	s_barrier
	buffer_gl0_inv
	s_and_saveexec_b32 s9, s1
	s_cbranch_execz .LBB35_22
; %bb.19:                               ;   in Loop: Header=BB35_8 Depth=1
	ds_load_b32 v3, v5
	ds_load_b32 v4, v11
	s_waitcnt lgkmcnt(0)
	v_cmp_eq_u32_e64 s8, v3, v4
	v_mov_b32_e32 v3, 0
	s_delay_alu instid0(VALU_DEP_2)
	s_and_saveexec_b32 s18, s8
	s_cbranch_execz .LBB35_21
; %bb.20:                               ;   in Loop: Header=BB35_8 Depth=1
	ds_load_b32 v3, v12
.LBB35_21:                              ;   in Loop: Header=BB35_8 Depth=1
	s_or_b32 exec_lo, exec_lo, s18
.LBB35_22:                              ;   in Loop: Header=BB35_8 Depth=1
	s_delay_alu instid0(SALU_CYCLE_1)
	s_or_b32 exec_lo, exec_lo, s9
	s_waitcnt lgkmcnt(0)
	s_barrier
	buffer_gl0_inv
	ds_load_b32 v4, v6
	s_waitcnt lgkmcnt(0)
	v_add_nc_u32_e32 v3, v4, v3
	ds_store_b32 v6, v3
	s_waitcnt lgkmcnt(0)
	s_barrier
	buffer_gl0_inv
	s_and_saveexec_b32 s9, s2
	s_cbranch_execz .LBB35_26
; %bb.23:                               ;   in Loop: Header=BB35_8 Depth=1
	ds_load_b32 v1, v5
	ds_load_b32 v3, v13
	s_waitcnt lgkmcnt(0)
	v_cmp_eq_u32_e64 s8, v1, v3
	v_mov_b32_e32 v1, 0
	s_delay_alu instid0(VALU_DEP_2)
	s_and_saveexec_b32 s18, s8
	s_cbranch_execz .LBB35_25
; %bb.24:                               ;   in Loop: Header=BB35_8 Depth=1
	ds_load_b32 v1, v14
.LBB35_25:                              ;   in Loop: Header=BB35_8 Depth=1
	s_or_b32 exec_lo, exec_lo, s18
.LBB35_26:                              ;   in Loop: Header=BB35_8 Depth=1
	s_delay_alu instid0(SALU_CYCLE_1)
	s_or_b32 exec_lo, exec_lo, s9
	s_waitcnt lgkmcnt(0)
	s_barrier
	buffer_gl0_inv
	ds_load_b32 v3, v6
	s_waitcnt lgkmcnt(0)
	v_dual_mov_b32 v1, 0 :: v_dual_add_nc_u32 v4, v3, v1
	v_mov_b32_e32 v3, 0
	ds_store_b32 v6, v4
	s_waitcnt lgkmcnt(0)
	s_barrier
	buffer_gl0_inv
	s_and_saveexec_b32 s9, s3
	s_cbranch_execz .LBB35_30
; %bb.27:                               ;   in Loop: Header=BB35_8 Depth=1
	ds_load_b32 v3, v5
	ds_load_b32 v4, v15
	s_waitcnt lgkmcnt(0)
	v_cmp_eq_u32_e64 s8, v3, v4
	v_mov_b32_e32 v3, 0
	s_delay_alu instid0(VALU_DEP_2)
	s_and_saveexec_b32 s18, s8
	s_cbranch_execz .LBB35_29
; %bb.28:                               ;   in Loop: Header=BB35_8 Depth=1
	ds_load_b32 v3, v16
.LBB35_29:                              ;   in Loop: Header=BB35_8 Depth=1
	s_or_b32 exec_lo, exec_lo, s18
.LBB35_30:                              ;   in Loop: Header=BB35_8 Depth=1
	;; [unrolled: 57-line block ×3, first 2 shown]
	s_delay_alu instid0(SALU_CYCLE_1)
	s_or_b32 exec_lo, exec_lo, s9
	s_waitcnt lgkmcnt(0)
	s_barrier
	buffer_gl0_inv
	ds_load_b32 v4, v6
	s_waitcnt lgkmcnt(0)
	v_add_nc_u32_e32 v3, v4, v3
	ds_store_b32 v6, v3
	s_waitcnt lgkmcnt(0)
	s_barrier
	buffer_gl0_inv
	s_and_saveexec_b32 s9, s6
	s_cbranch_execz .LBB35_42
; %bb.39:                               ;   in Loop: Header=BB35_8 Depth=1
	ds_load_b32 v1, v5
	ds_load_b32 v3, v21
	s_waitcnt lgkmcnt(0)
	v_cmp_eq_u32_e64 s8, v1, v3
	v_mov_b32_e32 v1, 0
	s_delay_alu instid0(VALU_DEP_2)
	s_and_saveexec_b32 s18, s8
	s_cbranch_execz .LBB35_41
; %bb.40:                               ;   in Loop: Header=BB35_8 Depth=1
	ds_load_b32 v1, v22
.LBB35_41:                              ;   in Loop: Header=BB35_8 Depth=1
	s_or_b32 exec_lo, exec_lo, s18
.LBB35_42:                              ;   in Loop: Header=BB35_8 Depth=1
	s_delay_alu instid0(SALU_CYCLE_1)
	s_or_b32 exec_lo, exec_lo, s9
	s_waitcnt lgkmcnt(0)
	s_barrier
	buffer_gl0_inv
	ds_load_b32 v3, v6
	s_waitcnt lgkmcnt(0)
	v_add_nc_u32_e32 v1, v3, v1
	v_mov_b32_e32 v3, -1
	ds_store_b32 v6, v1
	s_waitcnt lgkmcnt(0)
	s_barrier
	buffer_gl0_inv
	ds_load_b32 v1, v5
	s_and_saveexec_b32 s8, s7
	s_cbranch_execz .LBB35_44
; %bb.43:                               ;   in Loop: Header=BB35_8 Depth=1
	ds_load_b32 v3, v5 offset:4
.LBB35_44:                              ;   in Loop: Header=BB35_8 Depth=1
	s_or_b32 exec_lo, exec_lo, s8
	s_waitcnt lgkmcnt(0)
	v_cmp_ne_u32_e64 s8, v1, v3
	v_cmp_lt_i32_e64 s9, -1, v1
	s_delay_alu instid0(VALU_DEP_1) | instskip(NEXT) | instid1(SALU_CYCLE_1)
	s_and_b32 s8, s9, s8
	s_and_saveexec_b32 s9, s8
	s_cbranch_execz .LBB35_7
; %bb.45:                               ;   in Loop: Header=BB35_8 Depth=1
	v_lshlrev_b64 v[3:4], 2, v[1:2]
	ds_load_b32 v23, v6
	v_add_co_u32 v3, s8, s10, v3
	s_delay_alu instid0(VALU_DEP_1)
	v_add_co_ci_u32_e64 v4, s8, s11, v4, s8
	global_load_b32 v1, v[3:4], off
	s_waitcnt vmcnt(0) lgkmcnt(0)
	v_add_nc_u32_e32 v1, v23, v1
	global_store_b32 v[3:4], v1, off
	s_branch .LBB35_7
.LBB35_46:
	s_endpgm
	.section	.rodata,"a",@progbits
	.p2align	6, 0x0
	.amdhsa_kernel _ZN9rocsparseL29coomvn_segmented_loops_reduceILj256EiiiEEvT0_NS_24const_host_device_scalarIT2_EEPKS1_PKS3_PT1_b
		.amdhsa_group_segment_fixed_size 2048
		.amdhsa_private_segment_fixed_size 0
		.amdhsa_kernarg_size 44
		.amdhsa_user_sgpr_count 15
		.amdhsa_user_sgpr_dispatch_ptr 0
		.amdhsa_user_sgpr_queue_ptr 0
		.amdhsa_user_sgpr_kernarg_segment_ptr 1
		.amdhsa_user_sgpr_dispatch_id 0
		.amdhsa_user_sgpr_private_segment_size 0
		.amdhsa_wavefront_size32 1
		.amdhsa_uses_dynamic_stack 0
		.amdhsa_enable_private_segment 0
		.amdhsa_system_sgpr_workgroup_id_x 1
		.amdhsa_system_sgpr_workgroup_id_y 0
		.amdhsa_system_sgpr_workgroup_id_z 0
		.amdhsa_system_sgpr_workgroup_info 0
		.amdhsa_system_vgpr_workitem_id 0
		.amdhsa_next_free_vgpr 27
		.amdhsa_next_free_sgpr 19
		.amdhsa_reserve_vcc 1
		.amdhsa_float_round_mode_32 0
		.amdhsa_float_round_mode_16_64 0
		.amdhsa_float_denorm_mode_32 3
		.amdhsa_float_denorm_mode_16_64 3
		.amdhsa_dx10_clamp 1
		.amdhsa_ieee_mode 1
		.amdhsa_fp16_overflow 0
		.amdhsa_workgroup_processor_mode 1
		.amdhsa_memory_ordered 1
		.amdhsa_forward_progress 0
		.amdhsa_shared_vgpr_count 0
		.amdhsa_exception_fp_ieee_invalid_op 0
		.amdhsa_exception_fp_denorm_src 0
		.amdhsa_exception_fp_ieee_div_zero 0
		.amdhsa_exception_fp_ieee_overflow 0
		.amdhsa_exception_fp_ieee_underflow 0
		.amdhsa_exception_fp_ieee_inexact 0
		.amdhsa_exception_int_div_zero 0
	.end_amdhsa_kernel
	.section	.text._ZN9rocsparseL29coomvn_segmented_loops_reduceILj256EiiiEEvT0_NS_24const_host_device_scalarIT2_EEPKS1_PKS3_PT1_b,"axG",@progbits,_ZN9rocsparseL29coomvn_segmented_loops_reduceILj256EiiiEEvT0_NS_24const_host_device_scalarIT2_EEPKS1_PKS3_PT1_b,comdat
.Lfunc_end35:
	.size	_ZN9rocsparseL29coomvn_segmented_loops_reduceILj256EiiiEEvT0_NS_24const_host_device_scalarIT2_EEPKS1_PKS3_PT1_b, .Lfunc_end35-_ZN9rocsparseL29coomvn_segmented_loops_reduceILj256EiiiEEvT0_NS_24const_host_device_scalarIT2_EEPKS1_PKS3_PT1_b
                                        ; -- End function
	.section	.AMDGPU.csdata,"",@progbits
; Kernel info:
; codeLenInByte = 1692
; NumSgprs: 21
; NumVgprs: 27
; ScratchSize: 0
; MemoryBound: 0
; FloatMode: 240
; IeeeMode: 1
; LDSByteSize: 2048 bytes/workgroup (compile time only)
; SGPRBlocks: 2
; VGPRBlocks: 3
; NumSGPRsForWavesPerEU: 21
; NumVGPRsForWavesPerEU: 27
; Occupancy: 16
; WaveLimiterHint : 0
; COMPUTE_PGM_RSRC2:SCRATCH_EN: 0
; COMPUTE_PGM_RSRC2:USER_SGPR: 15
; COMPUTE_PGM_RSRC2:TRAP_HANDLER: 0
; COMPUTE_PGM_RSRC2:TGID_X_EN: 1
; COMPUTE_PGM_RSRC2:TGID_Y_EN: 0
; COMPUTE_PGM_RSRC2:TGID_Z_EN: 0
; COMPUTE_PGM_RSRC2:TIDIG_COMP_CNT: 0
	.section	.text._ZN9rocsparseL23coomvn_aos_atomic_loopsILj256ELj1ElaaiiEEvlNS_24const_host_device_scalarIT5_EEPKT1_PKT2_PKT3_PT4_21rocsparse_index_base_b,"axG",@progbits,_ZN9rocsparseL23coomvn_aos_atomic_loopsILj256ELj1ElaaiiEEvlNS_24const_host_device_scalarIT5_EEPKT1_PKT2_PKT3_PT4_21rocsparse_index_base_b,comdat
	.globl	_ZN9rocsparseL23coomvn_aos_atomic_loopsILj256ELj1ElaaiiEEvlNS_24const_host_device_scalarIT5_EEPKT1_PKT2_PKT3_PT4_21rocsparse_index_base_b ; -- Begin function _ZN9rocsparseL23coomvn_aos_atomic_loopsILj256ELj1ElaaiiEEvlNS_24const_host_device_scalarIT5_EEPKT1_PKT2_PKT3_PT4_21rocsparse_index_base_b
	.p2align	8
	.type	_ZN9rocsparseL23coomvn_aos_atomic_loopsILj256ELj1ElaaiiEEvlNS_24const_host_device_scalarIT5_EEPKT1_PKT2_PKT3_PT4_21rocsparse_index_base_b,@function
_ZN9rocsparseL23coomvn_aos_atomic_loopsILj256ELj1ElaaiiEEvlNS_24const_host_device_scalarIT5_EEPKT1_PKT2_PKT3_PT4_21rocsparse_index_base_b: ; @_ZN9rocsparseL23coomvn_aos_atomic_loopsILj256ELj1ElaaiiEEvlNS_24const_host_device_scalarIT5_EEPKT1_PKT2_PKT3_PT4_21rocsparse_index_base_b
; %bb.0:
	s_clause 0x1
	s_load_b64 s[2:3], s[0:1], 0x30
	s_load_b128 s[4:7], s[0:1], 0x0
	s_waitcnt lgkmcnt(0)
	s_bitcmp0_b32 s3, 0
	s_mov_b32 s3, 0
	s_cbranch_scc0 .LBB36_2
; %bb.1:
	s_load_b32 s7, s[6:7], 0x0
	s_and_not1_b32 vcc_lo, exec_lo, s3
	s_cbranch_vccz .LBB36_3
	s_branch .LBB36_4
.LBB36_2:
                                        ; implicit-def: $sgpr7
.LBB36_3:
	s_waitcnt lgkmcnt(0)
	s_mov_b32 s7, s6
.LBB36_4:
	s_waitcnt lgkmcnt(0)
	s_cmp_eq_u32 s7, 0
	s_cbranch_scc1 .LBB36_44
; %bb.5:
	v_dual_mov_b32 v2, 0 :: v_dual_mov_b32 v3, -1
	v_lshl_or_b32 v1, s15, 8, v0
	v_mov_b32_e32 v4, -1
	s_mov_b32 s3, exec_lo
	s_delay_alu instid0(VALU_DEP_2)
	v_cmpx_gt_i64_e64 s[4:5], v[1:2]
	s_cbranch_execz .LBB36_7
; %bb.6:
	s_clause 0x1
	s_load_b128 s[8:11], s[0:1], 0x10
	s_load_b64 s[4:5], s[0:1], 0x20
	v_lshlrev_b64 v[2:3], 4, v[1:2]
	s_waitcnt lgkmcnt(0)
	s_delay_alu instid0(VALU_DEP_1) | instskip(NEXT) | instid1(VALU_DEP_2)
	v_add_co_u32 v2, vcc_lo, s8, v2
	v_add_co_ci_u32_e32 v3, vcc_lo, s9, v3, vcc_lo
	v_add_co_u32 v1, s6, s10, v1
	global_load_b128 v[3:6], v[2:3], off slc dlc
	v_add_co_ci_u32_e64 v2, null, s11, 0, s6
	s_waitcnt vmcnt(0)
	v_sub_co_u32 v5, vcc_lo, v5, s2
	v_subrev_co_ci_u32_e32 v6, vcc_lo, 0, v6, vcc_lo
	s_delay_alu instid0(VALU_DEP_2) | instskip(NEXT) | instid1(VALU_DEP_2)
	v_add_co_u32 v5, vcc_lo, s4, v5
	v_add_co_ci_u32_e32 v6, vcc_lo, s5, v6, vcc_lo
	v_sub_co_u32 v3, vcc_lo, v3, s2
	global_load_i8 v1, v[1:2], off slc dlc
	global_load_i8 v2, v[5:6], off
	v_subrev_co_ci_u32_e32 v4, vcc_lo, 0, v4, vcc_lo
	s_waitcnt vmcnt(0)
	v_mul_i32_i24_e32 v2, v2, v1
.LBB36_7:
	s_or_b32 exec_lo, exec_lo, s3
	v_lshlrev_b32_e32 v6, 2, v0
	v_lshlrev_b32_e32 v1, 3, v0
	s_mov_b32 s2, exec_lo
	ds_store_b64 v1, v[3:4]
	ds_store_b32 v6, v2 offset:2048
	v_or_b32_e32 v5, 0x800, v6
	s_waitcnt lgkmcnt(0)
	s_barrier
	buffer_gl0_inv
	v_cmpx_ne_u32_e32 0, v0
	s_cbranch_execz .LBB36_11
; %bb.8:
	v_add_nc_u32_e32 v6, -8, v1
	s_mov_b32 s3, exec_lo
	ds_load_b64 v[6:7], v6
	s_waitcnt lgkmcnt(0)
	v_cmpx_eq_u64_e64 v[3:4], v[6:7]
	s_cbranch_execz .LBB36_10
; %bb.9:
	v_add_nc_u32_e32 v6, -4, v5
	ds_load_b32 v6, v6
	s_waitcnt lgkmcnt(0)
	v_add_nc_u32_e32 v2, v6, v2
.LBB36_10:
	s_or_b32 exec_lo, exec_lo, s3
.LBB36_11:
	s_delay_alu instid0(SALU_CYCLE_1) | instskip(NEXT) | instid1(SALU_CYCLE_1)
	s_or_b32 exec_lo, exec_lo, s2
	s_mov_b32 s2, exec_lo
	s_barrier
	buffer_gl0_inv
	ds_store_b32 v5, v2
	s_waitcnt lgkmcnt(0)
	s_barrier
	buffer_gl0_inv
	v_cmpx_lt_u32_e32 1, v0
	s_cbranch_execz .LBB36_15
; %bb.12:
	v_add_nc_u32_e32 v6, -16, v1
	s_mov_b32 s3, exec_lo
	ds_load_b64 v[6:7], v6
	s_waitcnt lgkmcnt(0)
	v_cmpx_eq_u64_e64 v[3:4], v[6:7]
	s_cbranch_execz .LBB36_14
; %bb.13:
	v_add_nc_u32_e32 v6, -8, v5
	ds_load_b32 v6, v6
	s_waitcnt lgkmcnt(0)
	v_add_nc_u32_e32 v2, v6, v2
.LBB36_14:
	s_or_b32 exec_lo, exec_lo, s3
.LBB36_15:
	s_delay_alu instid0(SALU_CYCLE_1) | instskip(NEXT) | instid1(SALU_CYCLE_1)
	s_or_b32 exec_lo, exec_lo, s2
	s_mov_b32 s2, exec_lo
	s_barrier
	buffer_gl0_inv
	ds_store_b32 v5, v2
	s_waitcnt lgkmcnt(0)
	s_barrier
	buffer_gl0_inv
	v_cmpx_lt_u32_e32 3, v0
	s_cbranch_execz .LBB36_19
; %bb.16:
	v_subrev_nc_u32_e32 v6, 32, v1
	s_mov_b32 s3, exec_lo
	ds_load_b64 v[6:7], v6
	s_waitcnt lgkmcnt(0)
	v_cmpx_eq_u64_e64 v[3:4], v[6:7]
	s_cbranch_execz .LBB36_18
; %bb.17:
	v_add_nc_u32_e32 v6, -16, v5
	ds_load_b32 v6, v6
	s_waitcnt lgkmcnt(0)
	v_add_nc_u32_e32 v2, v6, v2
.LBB36_18:
	s_or_b32 exec_lo, exec_lo, s3
.LBB36_19:
	s_delay_alu instid0(SALU_CYCLE_1) | instskip(NEXT) | instid1(SALU_CYCLE_1)
	s_or_b32 exec_lo, exec_lo, s2
	s_mov_b32 s2, exec_lo
	s_barrier
	buffer_gl0_inv
	ds_store_b32 v5, v2
	s_waitcnt lgkmcnt(0)
	s_barrier
	buffer_gl0_inv
	v_cmpx_lt_u32_e32 7, v0
	s_cbranch_execz .LBB36_23
; %bb.20:
	v_subrev_nc_u32_e32 v6, 64, v1
	s_mov_b32 s3, exec_lo
	ds_load_b64 v[6:7], v6
	s_waitcnt lgkmcnt(0)
	v_cmpx_eq_u64_e64 v[3:4], v[6:7]
	s_cbranch_execz .LBB36_22
; %bb.21:
	v_subrev_nc_u32_e32 v6, 32, v5
	ds_load_b32 v6, v6
	s_waitcnt lgkmcnt(0)
	v_add_nc_u32_e32 v2, v6, v2
.LBB36_22:
	s_or_b32 exec_lo, exec_lo, s3
.LBB36_23:
	s_delay_alu instid0(SALU_CYCLE_1) | instskip(NEXT) | instid1(SALU_CYCLE_1)
	s_or_b32 exec_lo, exec_lo, s2
	s_mov_b32 s2, exec_lo
	s_barrier
	buffer_gl0_inv
	ds_store_b32 v5, v2
	s_waitcnt lgkmcnt(0)
	s_barrier
	buffer_gl0_inv
	v_cmpx_lt_u32_e32 15, v0
	s_cbranch_execz .LBB36_27
; %bb.24:
	v_add_nc_u32_e32 v6, 0xffffff80, v1
	s_mov_b32 s3, exec_lo
	ds_load_b64 v[6:7], v6
	s_waitcnt lgkmcnt(0)
	v_cmpx_eq_u64_e64 v[3:4], v[6:7]
	s_cbranch_execz .LBB36_26
; %bb.25:
	v_subrev_nc_u32_e32 v6, 64, v5
	ds_load_b32 v6, v6
	s_waitcnt lgkmcnt(0)
	v_add_nc_u32_e32 v2, v6, v2
.LBB36_26:
	s_or_b32 exec_lo, exec_lo, s3
.LBB36_27:
	s_delay_alu instid0(SALU_CYCLE_1) | instskip(NEXT) | instid1(SALU_CYCLE_1)
	s_or_b32 exec_lo, exec_lo, s2
	s_mov_b32 s2, exec_lo
	s_barrier
	buffer_gl0_inv
	ds_store_b32 v5, v2
	s_waitcnt lgkmcnt(0)
	s_barrier
	buffer_gl0_inv
	v_cmpx_lt_u32_e32 31, v0
	s_cbranch_execz .LBB36_31
; %bb.28:
	v_add_nc_u32_e32 v6, 0xffffff00, v1
	s_mov_b32 s3, exec_lo
	ds_load_b64 v[6:7], v6
	s_waitcnt lgkmcnt(0)
	v_cmpx_eq_u64_e64 v[3:4], v[6:7]
	s_cbranch_execz .LBB36_30
; %bb.29:
	v_add_nc_u32_e32 v6, 0xffffff80, v5
	ds_load_b32 v6, v6
	s_waitcnt lgkmcnt(0)
	v_add_nc_u32_e32 v2, v6, v2
.LBB36_30:
	s_or_b32 exec_lo, exec_lo, s3
.LBB36_31:
	s_delay_alu instid0(SALU_CYCLE_1) | instskip(NEXT) | instid1(SALU_CYCLE_1)
	s_or_b32 exec_lo, exec_lo, s2
	s_mov_b32 s2, exec_lo
	s_barrier
	buffer_gl0_inv
	ds_store_b32 v5, v2
	s_waitcnt lgkmcnt(0)
	s_barrier
	buffer_gl0_inv
	v_cmpx_lt_u32_e32 63, v0
	s_cbranch_execz .LBB36_35
; %bb.32:
	v_add_nc_u32_e32 v6, 0xfffffe00, v1
	s_mov_b32 s3, exec_lo
	ds_load_b64 v[6:7], v6
	s_waitcnt lgkmcnt(0)
	v_cmpx_eq_u64_e64 v[3:4], v[6:7]
	s_cbranch_execz .LBB36_34
; %bb.33:
	v_add_nc_u32_e32 v6, 0xffffff00, v5
	ds_load_b32 v6, v6
	s_waitcnt lgkmcnt(0)
	v_add_nc_u32_e32 v2, v6, v2
.LBB36_34:
	s_or_b32 exec_lo, exec_lo, s3
.LBB36_35:
	s_delay_alu instid0(SALU_CYCLE_1)
	s_or_b32 exec_lo, exec_lo, s2
	s_load_b64 s[2:3], s[0:1], 0x28
	s_mov_b32 s0, exec_lo
	s_waitcnt lgkmcnt(0)
	s_barrier
	buffer_gl0_inv
	ds_store_b32 v5, v2
	s_waitcnt lgkmcnt(0)
	s_barrier
	buffer_gl0_inv
	v_cmpx_lt_u32_e32 0x7f, v0
	s_cbranch_execz .LBB36_39
; %bb.36:
	v_add_nc_u32_e32 v6, 0xfffffc00, v1
	s_mov_b32 s1, exec_lo
	ds_load_b64 v[6:7], v6
	s_waitcnt lgkmcnt(0)
	v_cmpx_eq_u64_e64 v[3:4], v[6:7]
	s_cbranch_execz .LBB36_38
; %bb.37:
	v_add_nc_u32_e32 v6, 0xfffffe00, v5
	ds_load_b32 v6, v6
	s_waitcnt lgkmcnt(0)
	v_add_nc_u32_e32 v2, v6, v2
.LBB36_38:
	s_or_b32 exec_lo, exec_lo, s1
.LBB36_39:
	s_delay_alu instid0(SALU_CYCLE_1) | instskip(NEXT) | instid1(SALU_CYCLE_1)
	s_or_b32 exec_lo, exec_lo, s0
	s_mov_b32 s1, exec_lo
	s_barrier
	buffer_gl0_inv
	ds_store_b32 v5, v2
	s_waitcnt lgkmcnt(0)
	s_barrier
	buffer_gl0_inv
	v_cmpx_gt_u32_e32 0xff, v0
	s_cbranch_execz .LBB36_42
; %bb.40:
	ds_load_b64 v[5:6], v1 offset:8
	v_cmp_lt_i64_e64 s0, -1, v[3:4]
	s_waitcnt lgkmcnt(0)
	v_cmp_ne_u64_e32 vcc_lo, v[3:4], v[5:6]
	s_delay_alu instid0(VALU_DEP_2) | instskip(NEXT) | instid1(SALU_CYCLE_1)
	s_and_b32 s0, s0, vcc_lo
	s_and_b32 exec_lo, exec_lo, s0
	s_cbranch_execz .LBB36_42
; %bb.41:
	v_lshlrev_b64 v[5:6], 2, v[3:4]
	v_mul_lo_u32 v1, v2, s7
	s_delay_alu instid0(VALU_DEP_2) | instskip(NEXT) | instid1(VALU_DEP_3)
	v_add_co_u32 v5, vcc_lo, s2, v5
	v_add_co_ci_u32_e32 v6, vcc_lo, s3, v6, vcc_lo
	global_atomic_add_u32 v[5:6], v1, off
.LBB36_42:
	s_or_b32 exec_lo, exec_lo, s1
	v_cmp_lt_i64_e32 vcc_lo, -1, v[3:4]
	v_cmp_eq_u32_e64 s0, 0xff, v0
	s_delay_alu instid0(VALU_DEP_1) | instskip(NEXT) | instid1(SALU_CYCLE_1)
	s_and_b32 s0, s0, vcc_lo
	s_and_saveexec_b32 s1, s0
	s_cbranch_execz .LBB36_44
; %bb.43:
	v_lshlrev_b64 v[0:1], 2, v[3:4]
	v_mul_lo_u32 v2, v2, s7
	s_delay_alu instid0(VALU_DEP_2) | instskip(NEXT) | instid1(VALU_DEP_3)
	v_add_co_u32 v0, vcc_lo, s2, v0
	v_add_co_ci_u32_e32 v1, vcc_lo, s3, v1, vcc_lo
	global_atomic_add_u32 v[0:1], v2, off
.LBB36_44:
	s_nop 0
	s_sendmsg sendmsg(MSG_DEALLOC_VGPRS)
	s_endpgm
	.section	.rodata,"a",@progbits
	.p2align	6, 0x0
	.amdhsa_kernel _ZN9rocsparseL23coomvn_aos_atomic_loopsILj256ELj1ElaaiiEEvlNS_24const_host_device_scalarIT5_EEPKT1_PKT2_PKT3_PT4_21rocsparse_index_base_b
		.amdhsa_group_segment_fixed_size 3072
		.amdhsa_private_segment_fixed_size 0
		.amdhsa_kernarg_size 56
		.amdhsa_user_sgpr_count 15
		.amdhsa_user_sgpr_dispatch_ptr 0
		.amdhsa_user_sgpr_queue_ptr 0
		.amdhsa_user_sgpr_kernarg_segment_ptr 1
		.amdhsa_user_sgpr_dispatch_id 0
		.amdhsa_user_sgpr_private_segment_size 0
		.amdhsa_wavefront_size32 1
		.amdhsa_uses_dynamic_stack 0
		.amdhsa_enable_private_segment 0
		.amdhsa_system_sgpr_workgroup_id_x 1
		.amdhsa_system_sgpr_workgroup_id_y 0
		.amdhsa_system_sgpr_workgroup_id_z 0
		.amdhsa_system_sgpr_workgroup_info 0
		.amdhsa_system_vgpr_workitem_id 0
		.amdhsa_next_free_vgpr 8
		.amdhsa_next_free_sgpr 16
		.amdhsa_reserve_vcc 1
		.amdhsa_float_round_mode_32 0
		.amdhsa_float_round_mode_16_64 0
		.amdhsa_float_denorm_mode_32 3
		.amdhsa_float_denorm_mode_16_64 3
		.amdhsa_dx10_clamp 1
		.amdhsa_ieee_mode 1
		.amdhsa_fp16_overflow 0
		.amdhsa_workgroup_processor_mode 1
		.amdhsa_memory_ordered 1
		.amdhsa_forward_progress 0
		.amdhsa_shared_vgpr_count 0
		.amdhsa_exception_fp_ieee_invalid_op 0
		.amdhsa_exception_fp_denorm_src 0
		.amdhsa_exception_fp_ieee_div_zero 0
		.amdhsa_exception_fp_ieee_overflow 0
		.amdhsa_exception_fp_ieee_underflow 0
		.amdhsa_exception_fp_ieee_inexact 0
		.amdhsa_exception_int_div_zero 0
	.end_amdhsa_kernel
	.section	.text._ZN9rocsparseL23coomvn_aos_atomic_loopsILj256ELj1ElaaiiEEvlNS_24const_host_device_scalarIT5_EEPKT1_PKT2_PKT3_PT4_21rocsparse_index_base_b,"axG",@progbits,_ZN9rocsparseL23coomvn_aos_atomic_loopsILj256ELj1ElaaiiEEvlNS_24const_host_device_scalarIT5_EEPKT1_PKT2_PKT3_PT4_21rocsparse_index_base_b,comdat
.Lfunc_end36:
	.size	_ZN9rocsparseL23coomvn_aos_atomic_loopsILj256ELj1ElaaiiEEvlNS_24const_host_device_scalarIT5_EEPKT1_PKT2_PKT3_PT4_21rocsparse_index_base_b, .Lfunc_end36-_ZN9rocsparseL23coomvn_aos_atomic_loopsILj256ELj1ElaaiiEEvlNS_24const_host_device_scalarIT5_EEPKT1_PKT2_PKT3_PT4_21rocsparse_index_base_b
                                        ; -- End function
	.section	.AMDGPU.csdata,"",@progbits
; Kernel info:
; codeLenInByte = 1432
; NumSgprs: 18
; NumVgprs: 8
; ScratchSize: 0
; MemoryBound: 0
; FloatMode: 240
; IeeeMode: 1
; LDSByteSize: 3072 bytes/workgroup (compile time only)
; SGPRBlocks: 2
; VGPRBlocks: 0
; NumSGPRsForWavesPerEU: 18
; NumVGPRsForWavesPerEU: 8
; Occupancy: 16
; WaveLimiterHint : 1
; COMPUTE_PGM_RSRC2:SCRATCH_EN: 0
; COMPUTE_PGM_RSRC2:USER_SGPR: 15
; COMPUTE_PGM_RSRC2:TRAP_HANDLER: 0
; COMPUTE_PGM_RSRC2:TGID_X_EN: 1
; COMPUTE_PGM_RSRC2:TGID_Y_EN: 0
; COMPUTE_PGM_RSRC2:TGID_Z_EN: 0
; COMPUTE_PGM_RSRC2:TIDIG_COMP_CNT: 0
	.section	.text._ZN9rocsparseL17coomvt_aos_kernelILj1024ElaaiiEEv20rocsparse_operation_lNS_24const_host_device_scalarIT4_EEPKT0_PKT1_PKT2_PT3_21rocsparse_index_base_b,"axG",@progbits,_ZN9rocsparseL17coomvt_aos_kernelILj1024ElaaiiEEv20rocsparse_operation_lNS_24const_host_device_scalarIT4_EEPKT0_PKT1_PKT2_PT3_21rocsparse_index_base_b,comdat
	.globl	_ZN9rocsparseL17coomvt_aos_kernelILj1024ElaaiiEEv20rocsparse_operation_lNS_24const_host_device_scalarIT4_EEPKT0_PKT1_PKT2_PT3_21rocsparse_index_base_b ; -- Begin function _ZN9rocsparseL17coomvt_aos_kernelILj1024ElaaiiEEv20rocsparse_operation_lNS_24const_host_device_scalarIT4_EEPKT0_PKT1_PKT2_PT3_21rocsparse_index_base_b
	.p2align	8
	.type	_ZN9rocsparseL17coomvt_aos_kernelILj1024ElaaiiEEv20rocsparse_operation_lNS_24const_host_device_scalarIT4_EEPKT0_PKT1_PKT2_PT3_21rocsparse_index_base_b,@function
_ZN9rocsparseL17coomvt_aos_kernelILj1024ElaaiiEEv20rocsparse_operation_lNS_24const_host_device_scalarIT4_EEPKT0_PKT1_PKT2_PT3_21rocsparse_index_base_b: ; @_ZN9rocsparseL17coomvt_aos_kernelILj1024ElaaiiEEv20rocsparse_operation_lNS_24const_host_device_scalarIT4_EEPKT0_PKT1_PKT2_PT3_21rocsparse_index_base_b
; %bb.0:
	s_clause 0x1
	s_load_b64 s[2:3], s[0:1], 0x38
	s_load_b128 s[4:7], s[0:1], 0x8
	s_mov_b32 s8, 0
	s_waitcnt lgkmcnt(0)
	s_bitcmp0_b32 s3, 0
	s_cbranch_scc0 .LBB37_2
; %bb.1:
	s_load_b32 s3, s[6:7], 0x0
	s_and_not1_b32 vcc_lo, exec_lo, s8
	s_cbranch_vccz .LBB37_3
	s_branch .LBB37_4
.LBB37_2:
                                        ; implicit-def: $sgpr3
.LBB37_3:
	s_waitcnt lgkmcnt(0)
	s_mov_b32 s3, s6
.LBB37_4:
	s_waitcnt lgkmcnt(0)
	s_cmp_eq_u32 s3, 0
	s_cbranch_scc1 .LBB37_7
; %bb.5:
	s_load_b32 s6, s[0:1], 0x4c
	s_waitcnt lgkmcnt(0)
	s_and_b32 s6, s6, 0xffff
	s_delay_alu instid0(SALU_CYCLE_1) | instskip(SKIP_1) | instid1(VALU_DEP_1)
	v_mad_u64_u32 v[1:2], null, s15, s6, v[0:1]
	v_mov_b32_e32 v2, 0
	v_cmp_gt_i64_e32 vcc_lo, s[4:5], v[1:2]
	s_and_saveexec_b32 s4, vcc_lo
	s_cbranch_execz .LBB37_7
; %bb.6:
	s_load_b256 s[4:11], s[0:1], 0x18
	v_lshlrev_b64 v[2:3], 4, v[1:2]
	s_waitcnt lgkmcnt(0)
	s_delay_alu instid0(VALU_DEP_1) | instskip(NEXT) | instid1(VALU_DEP_2)
	v_add_co_u32 v2, vcc_lo, s4, v2
	v_add_co_ci_u32_e32 v3, vcc_lo, s5, v3, vcc_lo
	v_add_co_u32 v0, s0, s6, v1
	s_delay_alu instid0(VALU_DEP_1)
	v_add_co_ci_u32_e64 v1, null, s7, 0, s0
	global_load_b128 v[2:5], v[2:3], off
	global_load_i8 v6, v[0:1], off
	s_waitcnt vmcnt(1)
	v_sub_co_u32 v2, vcc_lo, v2, s2
	v_subrev_co_ci_u32_e32 v3, vcc_lo, 0, v3, vcc_lo
	s_delay_alu instid0(VALU_DEP_2) | instskip(NEXT) | instid1(VALU_DEP_2)
	v_add_co_u32 v0, vcc_lo, s8, v2
	v_add_co_ci_u32_e32 v1, vcc_lo, s9, v3, vcc_lo
	s_waitcnt vmcnt(0)
	v_mul_lo_u32 v3, s3, v6
	global_load_i8 v2, v[0:1], off
	v_sub_co_u32 v0, vcc_lo, v4, s2
	v_subrev_co_ci_u32_e32 v1, vcc_lo, 0, v5, vcc_lo
	s_delay_alu instid0(VALU_DEP_1) | instskip(NEXT) | instid1(VALU_DEP_1)
	v_lshlrev_b64 v[0:1], 2, v[0:1]
	v_add_co_u32 v0, vcc_lo, s10, v0
	s_delay_alu instid0(VALU_DEP_2)
	v_add_co_ci_u32_e32 v1, vcc_lo, s11, v1, vcc_lo
	s_waitcnt vmcnt(0)
	v_mul_lo_u32 v2, v3, v2
	global_atomic_add_u32 v[0:1], v2, off
.LBB37_7:
	s_nop 0
	s_sendmsg sendmsg(MSG_DEALLOC_VGPRS)
	s_endpgm
	.section	.rodata,"a",@progbits
	.p2align	6, 0x0
	.amdhsa_kernel _ZN9rocsparseL17coomvt_aos_kernelILj1024ElaaiiEEv20rocsparse_operation_lNS_24const_host_device_scalarIT4_EEPKT0_PKT1_PKT2_PT3_21rocsparse_index_base_b
		.amdhsa_group_segment_fixed_size 0
		.amdhsa_private_segment_fixed_size 0
		.amdhsa_kernarg_size 320
		.amdhsa_user_sgpr_count 15
		.amdhsa_user_sgpr_dispatch_ptr 0
		.amdhsa_user_sgpr_queue_ptr 0
		.amdhsa_user_sgpr_kernarg_segment_ptr 1
		.amdhsa_user_sgpr_dispatch_id 0
		.amdhsa_user_sgpr_private_segment_size 0
		.amdhsa_wavefront_size32 1
		.amdhsa_uses_dynamic_stack 0
		.amdhsa_enable_private_segment 0
		.amdhsa_system_sgpr_workgroup_id_x 1
		.amdhsa_system_sgpr_workgroup_id_y 0
		.amdhsa_system_sgpr_workgroup_id_z 0
		.amdhsa_system_sgpr_workgroup_info 0
		.amdhsa_system_vgpr_workitem_id 0
		.amdhsa_next_free_vgpr 7
		.amdhsa_next_free_sgpr 16
		.amdhsa_reserve_vcc 1
		.amdhsa_float_round_mode_32 0
		.amdhsa_float_round_mode_16_64 0
		.amdhsa_float_denorm_mode_32 3
		.amdhsa_float_denorm_mode_16_64 3
		.amdhsa_dx10_clamp 1
		.amdhsa_ieee_mode 1
		.amdhsa_fp16_overflow 0
		.amdhsa_workgroup_processor_mode 1
		.amdhsa_memory_ordered 1
		.amdhsa_forward_progress 0
		.amdhsa_shared_vgpr_count 0
		.amdhsa_exception_fp_ieee_invalid_op 0
		.amdhsa_exception_fp_denorm_src 0
		.amdhsa_exception_fp_ieee_div_zero 0
		.amdhsa_exception_fp_ieee_overflow 0
		.amdhsa_exception_fp_ieee_underflow 0
		.amdhsa_exception_fp_ieee_inexact 0
		.amdhsa_exception_int_div_zero 0
	.end_amdhsa_kernel
	.section	.text._ZN9rocsparseL17coomvt_aos_kernelILj1024ElaaiiEEv20rocsparse_operation_lNS_24const_host_device_scalarIT4_EEPKT0_PKT1_PKT2_PT3_21rocsparse_index_base_b,"axG",@progbits,_ZN9rocsparseL17coomvt_aos_kernelILj1024ElaaiiEEv20rocsparse_operation_lNS_24const_host_device_scalarIT4_EEPKT0_PKT1_PKT2_PT3_21rocsparse_index_base_b,comdat
.Lfunc_end37:
	.size	_ZN9rocsparseL17coomvt_aos_kernelILj1024ElaaiiEEv20rocsparse_operation_lNS_24const_host_device_scalarIT4_EEPKT0_PKT1_PKT2_PT3_21rocsparse_index_base_b, .Lfunc_end37-_ZN9rocsparseL17coomvt_aos_kernelILj1024ElaaiiEEv20rocsparse_operation_lNS_24const_host_device_scalarIT4_EEPKT0_PKT1_PKT2_PT3_21rocsparse_index_base_b
                                        ; -- End function
	.section	.AMDGPU.csdata,"",@progbits
; Kernel info:
; codeLenInByte = 320
; NumSgprs: 18
; NumVgprs: 7
; ScratchSize: 0
; MemoryBound: 0
; FloatMode: 240
; IeeeMode: 1
; LDSByteSize: 0 bytes/workgroup (compile time only)
; SGPRBlocks: 2
; VGPRBlocks: 0
; NumSGPRsForWavesPerEU: 18
; NumVGPRsForWavesPerEU: 7
; Occupancy: 16
; WaveLimiterHint : 1
; COMPUTE_PGM_RSRC2:SCRATCH_EN: 0
; COMPUTE_PGM_RSRC2:USER_SGPR: 15
; COMPUTE_PGM_RSRC2:TRAP_HANDLER: 0
; COMPUTE_PGM_RSRC2:TGID_X_EN: 1
; COMPUTE_PGM_RSRC2:TGID_Y_EN: 0
; COMPUTE_PGM_RSRC2:TGID_Z_EN: 0
; COMPUTE_PGM_RSRC2:TIDIG_COMP_CNT: 0
	.section	.text._ZN9rocsparseL26coomvn_aos_segmented_loopsILj256ElaaiiEEvlT0_NS_24const_host_device_scalarIT4_EEPKS1_PKT1_PKT2_PT3_PS1_PS3_21rocsparse_index_base_b,"axG",@progbits,_ZN9rocsparseL26coomvn_aos_segmented_loopsILj256ElaaiiEEvlT0_NS_24const_host_device_scalarIT4_EEPKS1_PKT1_PKT2_PT3_PS1_PS3_21rocsparse_index_base_b,comdat
	.globl	_ZN9rocsparseL26coomvn_aos_segmented_loopsILj256ElaaiiEEvlT0_NS_24const_host_device_scalarIT4_EEPKS1_PKT1_PKT2_PT3_PS1_PS3_21rocsparse_index_base_b ; -- Begin function _ZN9rocsparseL26coomvn_aos_segmented_loopsILj256ElaaiiEEvlT0_NS_24const_host_device_scalarIT4_EEPKS1_PKT1_PKT2_PT3_PS1_PS3_21rocsparse_index_base_b
	.p2align	8
	.type	_ZN9rocsparseL26coomvn_aos_segmented_loopsILj256ElaaiiEEvlT0_NS_24const_host_device_scalarIT4_EEPKS1_PKT1_PKT2_PT3_PS1_PS3_21rocsparse_index_base_b,@function
_ZN9rocsparseL26coomvn_aos_segmented_loopsILj256ElaaiiEEvlT0_NS_24const_host_device_scalarIT4_EEPKS1_PKT1_PKT2_PT3_PS1_PS3_21rocsparse_index_base_b: ; @_ZN9rocsparseL26coomvn_aos_segmented_loopsILj256ElaaiiEEvlT0_NS_24const_host_device_scalarIT4_EEPKS1_PKT1_PKT2_PT3_PS1_PS3_21rocsparse_index_base_b
; %bb.0:
	s_clause 0x1
	s_load_b64 s[26:27], s[0:1], 0x48
	s_load_b64 s[2:3], s[0:1], 0x10
	s_mov_b32 s24, s15
	s_mov_b32 s4, 0
	s_waitcnt lgkmcnt(0)
	s_bitcmp0_b32 s27, 0
	s_cbranch_scc0 .LBB38_2
; %bb.1:
	s_load_b32 s27, s[2:3], 0x0
	s_and_not1_b32 vcc_lo, exec_lo, s4
	s_cbranch_vccz .LBB38_3
	s_branch .LBB38_4
.LBB38_2:
                                        ; implicit-def: $sgpr27
.LBB38_3:
	s_waitcnt lgkmcnt(0)
	s_mov_b32 s27, s2
.LBB38_4:
	s_waitcnt lgkmcnt(0)
	s_cmp_eq_u32 s27, 0
	s_mov_b32 s25, 0
	s_cbranch_scc1 .LBB38_91
; %bb.5:
	s_clause 0x2
	s_load_b128 s[16:19], s[0:1], 0x0
	s_load_b128 s[20:23], s[0:1], 0x18
	s_load_b64 s[34:35], s[0:1], 0x28
	v_dual_mov_b32 v12, 0 :: v_dual_mov_b32 v1, -1
	v_mov_b32_e32 v2, -1
	s_waitcnt lgkmcnt(0)
	s_mul_i32 s3, s24, s19
	s_mul_hi_u32 s4, s24, s18
	s_mul_i32 s2, s24, s18
	s_add_i32 s3, s4, s3
	s_delay_alu instid0(SALU_CYCLE_1) | instskip(NEXT) | instid1(SALU_CYCLE_1)
	s_lshl_b64 s[2:3], s[2:3], 8
	v_mov_b32_e32 v4, s3
	v_or_b32_e32 v3, s2, v0
	s_mov_b32 s2, exec_lo
	s_delay_alu instid0(VALU_DEP_1)
	v_cmpx_gt_i64_e64 s[16:17], v[3:4]
	s_cbranch_execz .LBB38_7
; %bb.6:
	v_lshlrev_b64 v[1:2], 4, v[3:4]
	s_ashr_i32 s3, s26, 31
	s_delay_alu instid0(VALU_DEP_1) | instskip(NEXT) | instid1(VALU_DEP_2)
	v_add_co_u32 v1, vcc_lo, s20, v1
	v_add_co_ci_u32_e32 v2, vcc_lo, s21, v2, vcc_lo
	global_load_b128 v[5:8], v[1:2], off slc dlc
	v_add_co_u32 v1, vcc_lo, s22, v3
	v_add_co_ci_u32_e32 v2, vcc_lo, s23, v4, vcc_lo
	s_waitcnt vmcnt(0)
	v_add_co_u32 v7, vcc_lo, s34, v7
	v_add_co_ci_u32_e32 v8, vcc_lo, s35, v8, vcc_lo
	s_delay_alu instid0(VALU_DEP_2) | instskip(NEXT) | instid1(VALU_DEP_2)
	v_sub_co_u32 v7, vcc_lo, v7, s26
	v_subrev_co_ci_u32_e32 v8, vcc_lo, s3, v8, vcc_lo
	global_load_i8 v9, v[1:2], off slc dlc
	global_load_i8 v7, v[7:8], off
	v_sub_co_u32 v1, vcc_lo, v5, s26
	v_subrev_co_ci_u32_e32 v2, vcc_lo, 0, v6, vcc_lo
	s_waitcnt vmcnt(0)
	v_mul_i32_i24_e32 v12, v7, v9
.LBB38_7:
	s_or_b32 exec_lo, exec_lo, s2
	v_lshlrev_b32_e32 v5, 2, v0
	v_lshlrev_b32_e32 v9, 3, v0
	v_cmp_eq_u32_e64 s2, 0, v0
	v_cmp_ne_u32_e64 s3, 0, v0
	ds_store_b64 v9, v[1:2]
	ds_store_b32 v5, v12 offset:2048
	v_or_b32_e32 v10, 0x800, v5
	v_add_nc_u32_e32 v11, -8, v9
	s_waitcnt lgkmcnt(0)
	s_barrier
	buffer_gl0_inv
	s_and_saveexec_b32 s4, s3
	s_cbranch_execz .LBB38_11
; %bb.8:
	ds_load_b64 v[5:6], v11
	s_mov_b32 s5, exec_lo
	s_waitcnt lgkmcnt(0)
	v_cmpx_eq_u64_e64 v[1:2], v[5:6]
	s_cbranch_execz .LBB38_10
; %bb.9:
	v_add_nc_u32_e32 v5, -4, v10
	ds_load_b32 v5, v5
	s_waitcnt lgkmcnt(0)
	v_add_nc_u32_e32 v12, v5, v12
.LBB38_10:
	s_or_b32 exec_lo, exec_lo, s5
.LBB38_11:
	s_delay_alu instid0(SALU_CYCLE_1)
	s_or_b32 exec_lo, exec_lo, s4
	v_cmp_lt_u32_e64 s4, 1, v0
	v_add_nc_u32_e32 v13, -16, v9
	s_barrier
	buffer_gl0_inv
	ds_store_b32 v10, v12
	s_waitcnt lgkmcnt(0)
	s_barrier
	buffer_gl0_inv
	s_and_saveexec_b32 s5, s4
	s_cbranch_execz .LBB38_15
; %bb.12:
	ds_load_b64 v[5:6], v13
	s_mov_b32 s6, exec_lo
	s_waitcnt lgkmcnt(0)
	v_cmpx_eq_u64_e64 v[1:2], v[5:6]
	s_cbranch_execz .LBB38_14
; %bb.13:
	v_add_nc_u32_e32 v5, -8, v10
	ds_load_b32 v5, v5
	s_waitcnt lgkmcnt(0)
	v_add_nc_u32_e32 v12, v5, v12
.LBB38_14:
	s_or_b32 exec_lo, exec_lo, s6
.LBB38_15:
	s_delay_alu instid0(SALU_CYCLE_1)
	s_or_b32 exec_lo, exec_lo, s5
	v_cmp_lt_u32_e64 s5, 3, v0
	v_subrev_nc_u32_e32 v14, 32, v9
	s_barrier
	buffer_gl0_inv
	ds_store_b32 v10, v12
	s_waitcnt lgkmcnt(0)
	s_barrier
	buffer_gl0_inv
	s_and_saveexec_b32 s6, s5
	s_cbranch_execz .LBB38_19
; %bb.16:
	ds_load_b64 v[5:6], v14
	s_mov_b32 s7, exec_lo
	s_waitcnt lgkmcnt(0)
	v_cmpx_eq_u64_e64 v[1:2], v[5:6]
	s_cbranch_execz .LBB38_18
; %bb.17:
	v_add_nc_u32_e32 v5, -16, v10
	ds_load_b32 v5, v5
	s_waitcnt lgkmcnt(0)
	v_add_nc_u32_e32 v12, v5, v12
.LBB38_18:
	s_or_b32 exec_lo, exec_lo, s7
.LBB38_19:
	s_delay_alu instid0(SALU_CYCLE_1)
	s_or_b32 exec_lo, exec_lo, s6
	v_cmp_lt_u32_e64 s6, 7, v0
	v_subrev_nc_u32_e32 v15, 64, v9
	s_barrier
	buffer_gl0_inv
	ds_store_b32 v10, v12
	s_waitcnt lgkmcnt(0)
	s_barrier
	buffer_gl0_inv
	s_and_saveexec_b32 s7, s6
	s_cbranch_execz .LBB38_23
; %bb.20:
	ds_load_b64 v[5:6], v15
	s_mov_b32 s8, exec_lo
	s_waitcnt lgkmcnt(0)
	v_cmpx_eq_u64_e64 v[1:2], v[5:6]
	s_cbranch_execz .LBB38_22
; %bb.21:
	v_subrev_nc_u32_e32 v5, 32, v10
	ds_load_b32 v5, v5
	s_waitcnt lgkmcnt(0)
	v_add_nc_u32_e32 v12, v5, v12
.LBB38_22:
	s_or_b32 exec_lo, exec_lo, s8
.LBB38_23:
	s_delay_alu instid0(SALU_CYCLE_1)
	s_or_b32 exec_lo, exec_lo, s7
	v_cmp_lt_u32_e64 s7, 15, v0
	v_add_nc_u32_e32 v16, 0xffffff80, v9
	s_barrier
	buffer_gl0_inv
	ds_store_b32 v10, v12
	s_waitcnt lgkmcnt(0)
	s_barrier
	buffer_gl0_inv
	s_and_saveexec_b32 s8, s7
	s_cbranch_execz .LBB38_27
; %bb.24:
	ds_load_b64 v[5:6], v16
	s_mov_b32 s9, exec_lo
	s_waitcnt lgkmcnt(0)
	v_cmpx_eq_u64_e64 v[1:2], v[5:6]
	s_cbranch_execz .LBB38_26
; %bb.25:
	v_subrev_nc_u32_e32 v5, 64, v10
	ds_load_b32 v5, v5
	s_waitcnt lgkmcnt(0)
	v_add_nc_u32_e32 v12, v5, v12
.LBB38_26:
	s_or_b32 exec_lo, exec_lo, s9
.LBB38_27:
	s_delay_alu instid0(SALU_CYCLE_1)
	s_or_b32 exec_lo, exec_lo, s8
	v_cmp_lt_u32_e64 s8, 31, v0
	v_add_nc_u32_e32 v17, 0xffffff00, v9
	s_barrier
	buffer_gl0_inv
	ds_store_b32 v10, v12
	s_waitcnt lgkmcnt(0)
	s_barrier
	buffer_gl0_inv
	s_and_saveexec_b32 s9, s8
	s_cbranch_execz .LBB38_31
; %bb.28:
	ds_load_b64 v[5:6], v17
	s_mov_b32 s10, exec_lo
	s_waitcnt lgkmcnt(0)
	v_cmpx_eq_u64_e64 v[1:2], v[5:6]
	s_cbranch_execz .LBB38_30
; %bb.29:
	v_add_nc_u32_e32 v5, 0xffffff80, v10
	ds_load_b32 v5, v5
	s_waitcnt lgkmcnt(0)
	v_add_nc_u32_e32 v12, v5, v12
.LBB38_30:
	s_or_b32 exec_lo, exec_lo, s10
.LBB38_31:
	s_delay_alu instid0(SALU_CYCLE_1)
	s_or_b32 exec_lo, exec_lo, s9
	v_cmp_lt_u32_e64 s9, 63, v0
	v_add_nc_u32_e32 v18, 0xfffffe00, v9
	s_barrier
	buffer_gl0_inv
	ds_store_b32 v10, v12
	s_waitcnt lgkmcnt(0)
	s_barrier
	buffer_gl0_inv
	s_and_saveexec_b32 s10, s9
	s_cbranch_execz .LBB38_35
; %bb.32:
	ds_load_b64 v[5:6], v18
	s_mov_b32 s11, exec_lo
	s_waitcnt lgkmcnt(0)
	v_cmpx_eq_u64_e64 v[1:2], v[5:6]
	s_cbranch_execz .LBB38_34
; %bb.33:
	v_add_nc_u32_e32 v5, 0xffffff00, v10
	ds_load_b32 v5, v5
	s_waitcnt lgkmcnt(0)
	v_add_nc_u32_e32 v12, v5, v12
.LBB38_34:
	s_or_b32 exec_lo, exec_lo, s11
.LBB38_35:
	s_delay_alu instid0(SALU_CYCLE_1)
	s_or_b32 exec_lo, exec_lo, s10
	s_load_b64 s[28:29], s[0:1], 0x30
	v_cmp_lt_u32_e64 s10, 0x7f, v0
	v_add_nc_u32_e32 v19, 0xfffffc00, v9
	s_waitcnt lgkmcnt(0)
	s_barrier
	buffer_gl0_inv
	ds_store_b32 v10, v12
	s_waitcnt lgkmcnt(0)
	s_barrier
	buffer_gl0_inv
	s_and_saveexec_b32 s11, s10
	s_cbranch_execz .LBB38_39
; %bb.36:
	ds_load_b64 v[5:6], v19
	s_mov_b32 s12, exec_lo
	s_waitcnt lgkmcnt(0)
	v_cmpx_eq_u64_e64 v[1:2], v[5:6]
	s_cbranch_execz .LBB38_38
; %bb.37:
	v_add_nc_u32_e32 v5, 0xfffffe00, v10
	ds_load_b32 v5, v5
	s_waitcnt lgkmcnt(0)
	v_add_nc_u32_e32 v12, v5, v12
.LBB38_38:
	s_or_b32 exec_lo, exec_lo, s12
.LBB38_39:
	s_delay_alu instid0(SALU_CYCLE_1)
	s_or_b32 exec_lo, exec_lo, s11
	v_cmp_gt_u32_e64 s11, 0xff, v0
	s_barrier
	buffer_gl0_inv
	ds_store_b32 v10, v12
	s_waitcnt lgkmcnt(0)
	s_barrier
	buffer_gl0_inv
	s_and_saveexec_b32 s13, s11
	s_cbranch_execz .LBB38_42
; %bb.40:
	ds_load_b64 v[5:6], v9 offset:8
	v_cmp_lt_i64_e64 s12, -1, v[1:2]
	s_waitcnt lgkmcnt(0)
	v_cmp_ne_u64_e32 vcc_lo, v[1:2], v[5:6]
	s_delay_alu instid0(VALU_DEP_2) | instskip(NEXT) | instid1(SALU_CYCLE_1)
	s_and_b32 s12, s12, vcc_lo
	s_and_b32 exec_lo, exec_lo, s12
	s_cbranch_execz .LBB38_42
; %bb.41:
	v_lshlrev_b64 v[5:6], 2, v[1:2]
	s_delay_alu instid0(VALU_DEP_1) | instskip(NEXT) | instid1(VALU_DEP_2)
	v_add_co_u32 v5, vcc_lo, s28, v5
	v_add_co_ci_u32_e32 v6, vcc_lo, s29, v6, vcc_lo
	global_load_b32 v7, v[5:6], off
	s_waitcnt vmcnt(0)
	v_mad_u64_u32 v[20:21], null, v12, s27, v[7:8]
	global_store_b32 v[5:6], v20, off
.LBB38_42:
	s_or_b32 exec_lo, exec_lo, s13
	s_load_b128 s[12:15], s[0:1], 0x38
	v_cmp_lt_i64_e64 s0, s[18:19], 2
	s_delay_alu instid0(VALU_DEP_1)
	s_and_b32 vcc_lo, exec_lo, s0
	s_cbranch_vccnz .LBB38_89
; %bb.43:
	s_add_u32 s30, s18, -1
	s_addc_u32 s31, s19, -1
	s_ashr_i32 s0, s26, 31
	s_sub_u32 s1, s34, s26
	s_subb_u32 s33, s35, s0
	s_mul_i32 s0, s19, s24
	s_mul_hi_u32 s19, s18, s24
	s_mul_i32 s18, s18, s24
	s_add_i32 s19, s19, s0
	v_lshlrev_b32_e32 v1, 4, v0
	s_lshl_b64 s[18:19], s[18:19], 12
	v_add_co_u32 v3, vcc_lo, 0x100, v3
	s_add_u32 s0, s20, s18
	s_addc_u32 s18, s21, s19
	v_add_co_u32 v1, s0, s0, v1
	s_delay_alu instid0(VALU_DEP_1) | instskip(SKIP_1) | instid1(VALU_DEP_3)
	v_add_co_ci_u32_e64 v2, null, s18, 0, s0
	v_add_co_ci_u32_e32 v4, vcc_lo, 0, v4, vcc_lo
	v_add_co_u32 v5, vcc_lo, 0x1008, v1
	v_add_nc_u32_e32 v20, -4, v10
	v_dual_mov_b32 v28, 0 :: v_dual_add_nc_u32 v21, -8, v10
	v_add_nc_u32_e32 v22, -16, v10
	v_subrev_nc_u32_e32 v23, 32, v10
	v_subrev_nc_u32_e32 v24, 64, v10
	v_add_nc_u32_e32 v25, 0xffffff80, v10
	v_add_nc_u32_e32 v26, 0xffffff00, v10
	;; [unrolled: 1-line block ×3, first 2 shown]
	v_add_co_ci_u32_e32 v6, vcc_lo, 0, v2, vcc_lo
	s_mov_b64 s[18:19], 0
	s_branch .LBB38_45
.LBB38_44:                              ;   in Loop: Header=BB38_45 Depth=1
	s_or_b32 exec_lo, exec_lo, s20
	s_add_u32 s18, s18, 1
	s_addc_u32 s19, s19, 0
	v_add_co_u32 v3, vcc_lo, 0x100, v3
	v_cmp_le_u64_e64 s0, s[30:31], s[18:19]
	v_add_co_ci_u32_e32 v4, vcc_lo, 0, v4, vcc_lo
	v_add_co_u32 v5, vcc_lo, 0x1000, v5
	v_add_co_ci_u32_e32 v6, vcc_lo, 0, v6, vcc_lo
	s_delay_alu instid0(VALU_DEP_4)
	s_and_b32 vcc_lo, exec_lo, s0
	s_cbranch_vccnz .LBB38_89
.LBB38_45:                              ; =>This Inner Loop Header: Depth=1
	v_dual_mov_b32 v1, -1 :: v_dual_mov_b32 v12, 0
	v_mov_b32_e32 v2, -1
	s_mov_b32 s0, exec_lo
	v_cmpx_gt_i64_e64 s[16:17], v[3:4]
	s_cbranch_execz .LBB38_47
; %bb.46:                               ;   in Loop: Header=BB38_45 Depth=1
	global_load_b128 v[29:32], v[5:6], off offset:-8 slc dlc
	v_add_co_u32 v1, vcc_lo, s22, v3
	v_add_co_ci_u32_e32 v2, vcc_lo, s23, v4, vcc_lo
	s_waitcnt vmcnt(0)
	v_add_co_u32 v7, vcc_lo, s1, v31
	v_add_co_ci_u32_e32 v8, vcc_lo, s33, v32, vcc_lo
	global_load_i8 v12, v[1:2], off slc dlc
	global_load_i8 v7, v[7:8], off
	v_sub_co_u32 v1, vcc_lo, v29, s26
	v_subrev_co_ci_u32_e32 v2, vcc_lo, 0, v30, vcc_lo
	s_waitcnt vmcnt(0)
	v_mul_i32_i24_e32 v12, v7, v12
.LBB38_47:                              ;   in Loop: Header=BB38_45 Depth=1
	s_or_b32 exec_lo, exec_lo, s0
	s_and_saveexec_b32 s0, s2
	s_cbranch_execz .LBB38_54
; %bb.48:                               ;   in Loop: Header=BB38_45 Depth=1
	ds_load_b64 v[7:8], v28 offset:2040
	s_mov_b32 s20, exec_lo
	s_waitcnt lgkmcnt(0)
	v_cmpx_ne_u64_e64 v[1:2], v[7:8]
	s_xor_b32 s20, exec_lo, s20
	s_cbranch_execz .LBB38_51
; %bb.49:                               ;   in Loop: Header=BB38_45 Depth=1
	v_cmp_gt_i64_e32 vcc_lo, 0, v[7:8]
	s_cbranch_vccnz .LBB38_51
; %bb.50:                               ;   in Loop: Header=BB38_45 Depth=1
	v_lshlrev_b64 v[7:8], 2, v[7:8]
	ds_load_b32 v30, v28 offset:3068
	v_add_co_u32 v7, vcc_lo, s28, v7
	v_add_co_ci_u32_e32 v8, vcc_lo, s29, v8, vcc_lo
	global_load_b32 v29, v[7:8], off
	s_waitcnt lgkmcnt(0)
	v_mul_lo_u32 v30, v30, s27
	s_waitcnt vmcnt(0)
	s_delay_alu instid0(VALU_DEP_1)
	v_add_nc_u32_e32 v29, v30, v29
	global_store_b32 v[7:8], v29, off
.LBB38_51:                              ;   in Loop: Header=BB38_45 Depth=1
	s_and_not1_saveexec_b32 s20, s20
	s_cbranch_execz .LBB38_53
; %bb.52:                               ;   in Loop: Header=BB38_45 Depth=1
	ds_load_b32 v7, v28 offset:3068
	s_waitcnt lgkmcnt(0)
	v_add_nc_u32_e32 v12, v7, v12
.LBB38_53:                              ;   in Loop: Header=BB38_45 Depth=1
	s_or_b32 exec_lo, exec_lo, s20
.LBB38_54:                              ;   in Loop: Header=BB38_45 Depth=1
	s_delay_alu instid0(SALU_CYCLE_1)
	s_or_b32 exec_lo, exec_lo, s0
	s_waitcnt lgkmcnt(0)
	s_waitcnt_vscnt null, 0x0
	s_barrier
	buffer_gl0_inv
	ds_store_b64 v9, v[1:2]
	ds_store_b32 v10, v12
	s_waitcnt lgkmcnt(0)
	s_barrier
	buffer_gl0_inv
	s_and_saveexec_b32 s0, s3
	s_cbranch_execz .LBB38_58
; %bb.55:                               ;   in Loop: Header=BB38_45 Depth=1
	ds_load_b64 v[7:8], v11
	s_mov_b32 s20, exec_lo
	s_waitcnt lgkmcnt(0)
	v_cmpx_eq_u64_e64 v[1:2], v[7:8]
	s_cbranch_execz .LBB38_57
; %bb.56:                               ;   in Loop: Header=BB38_45 Depth=1
	ds_load_b32 v7, v20
	s_waitcnt lgkmcnt(0)
	v_add_nc_u32_e32 v12, v7, v12
.LBB38_57:                              ;   in Loop: Header=BB38_45 Depth=1
	s_or_b32 exec_lo, exec_lo, s20
.LBB38_58:                              ;   in Loop: Header=BB38_45 Depth=1
	s_delay_alu instid0(SALU_CYCLE_1)
	s_or_b32 exec_lo, exec_lo, s0
	s_barrier
	buffer_gl0_inv
	ds_store_b32 v10, v12
	s_waitcnt lgkmcnt(0)
	s_barrier
	buffer_gl0_inv
	s_and_saveexec_b32 s0, s4
	s_cbranch_execz .LBB38_62
; %bb.59:                               ;   in Loop: Header=BB38_45 Depth=1
	ds_load_b64 v[7:8], v13
	s_mov_b32 s20, exec_lo
	s_waitcnt lgkmcnt(0)
	v_cmpx_eq_u64_e64 v[1:2], v[7:8]
	s_cbranch_execz .LBB38_61
; %bb.60:                               ;   in Loop: Header=BB38_45 Depth=1
	ds_load_b32 v7, v21
	s_waitcnt lgkmcnt(0)
	v_add_nc_u32_e32 v12, v7, v12
.LBB38_61:                              ;   in Loop: Header=BB38_45 Depth=1
	s_or_b32 exec_lo, exec_lo, s20
.LBB38_62:                              ;   in Loop: Header=BB38_45 Depth=1
	s_delay_alu instid0(SALU_CYCLE_1)
	s_or_b32 exec_lo, exec_lo, s0
	s_barrier
	buffer_gl0_inv
	;; [unrolled: 23-line block ×8, first 2 shown]
	ds_store_b32 v10, v12
	s_waitcnt lgkmcnt(0)
	s_barrier
	buffer_gl0_inv
	s_and_saveexec_b32 s20, s11
	s_cbranch_execz .LBB38_44
; %bb.87:                               ;   in Loop: Header=BB38_45 Depth=1
	ds_load_b64 v[7:8], v9 offset:8
	v_cmp_lt_i64_e64 s0, -1, v[1:2]
	s_waitcnt lgkmcnt(0)
	v_cmp_ne_u64_e32 vcc_lo, v[1:2], v[7:8]
	s_delay_alu instid0(VALU_DEP_2) | instskip(NEXT) | instid1(SALU_CYCLE_1)
	s_and_b32 s0, s0, vcc_lo
	s_and_b32 exec_lo, exec_lo, s0
	s_cbranch_execz .LBB38_44
; %bb.88:                               ;   in Loop: Header=BB38_45 Depth=1
	v_lshlrev_b64 v[7:8], 2, v[1:2]
	s_delay_alu instid0(VALU_DEP_1) | instskip(NEXT) | instid1(VALU_DEP_2)
	v_add_co_u32 v7, vcc_lo, s28, v7
	v_add_co_ci_u32_e32 v8, vcc_lo, s29, v8, vcc_lo
	global_load_b32 v29, v[7:8], off
	s_waitcnt vmcnt(0)
	v_mad_u64_u32 v[30:31], null, v12, s27, v[29:30]
	global_store_b32 v[7:8], v30, off
	s_branch .LBB38_44
.LBB38_89:
	s_mov_b32 s0, exec_lo
	v_cmpx_eq_u32_e32 0xff, v0
	s_cbranch_execz .LBB38_91
; %bb.90:
	s_lshl_b64 s[0:1], s[24:25], 3
	v_mul_lo_u32 v0, v12, s27
	s_waitcnt lgkmcnt(0)
	s_add_u32 s0, s12, s0
	v_mov_b32_e32 v3, 0
	s_addc_u32 s1, s13, s1
	s_lshl_b64 s[2:3], s[24:25], 2
	s_delay_alu instid0(SALU_CYCLE_1)
	s_add_u32 s2, s14, s2
	s_addc_u32 s3, s15, s3
	s_clause 0x1
	global_store_b64 v3, v[1:2], s[0:1] glc slc dlc
	global_store_b32 v3, v0, s[2:3] glc slc dlc
.LBB38_91:
	s_nop 0
	s_sendmsg sendmsg(MSG_DEALLOC_VGPRS)
	s_endpgm
	.section	.rodata,"a",@progbits
	.p2align	6, 0x0
	.amdhsa_kernel _ZN9rocsparseL26coomvn_aos_segmented_loopsILj256ElaaiiEEvlT0_NS_24const_host_device_scalarIT4_EEPKS1_PKT1_PKT2_PT3_PS1_PS3_21rocsparse_index_base_b
		.amdhsa_group_segment_fixed_size 3072
		.amdhsa_private_segment_fixed_size 0
		.amdhsa_kernarg_size 80
		.amdhsa_user_sgpr_count 15
		.amdhsa_user_sgpr_dispatch_ptr 0
		.amdhsa_user_sgpr_queue_ptr 0
		.amdhsa_user_sgpr_kernarg_segment_ptr 1
		.amdhsa_user_sgpr_dispatch_id 0
		.amdhsa_user_sgpr_private_segment_size 0
		.amdhsa_wavefront_size32 1
		.amdhsa_uses_dynamic_stack 0
		.amdhsa_enable_private_segment 0
		.amdhsa_system_sgpr_workgroup_id_x 1
		.amdhsa_system_sgpr_workgroup_id_y 0
		.amdhsa_system_sgpr_workgroup_id_z 0
		.amdhsa_system_sgpr_workgroup_info 0
		.amdhsa_system_vgpr_workitem_id 0
		.amdhsa_next_free_vgpr 33
		.amdhsa_next_free_sgpr 36
		.amdhsa_reserve_vcc 1
		.amdhsa_float_round_mode_32 0
		.amdhsa_float_round_mode_16_64 0
		.amdhsa_float_denorm_mode_32 3
		.amdhsa_float_denorm_mode_16_64 3
		.amdhsa_dx10_clamp 1
		.amdhsa_ieee_mode 1
		.amdhsa_fp16_overflow 0
		.amdhsa_workgroup_processor_mode 1
		.amdhsa_memory_ordered 1
		.amdhsa_forward_progress 0
		.amdhsa_shared_vgpr_count 0
		.amdhsa_exception_fp_ieee_invalid_op 0
		.amdhsa_exception_fp_denorm_src 0
		.amdhsa_exception_fp_ieee_div_zero 0
		.amdhsa_exception_fp_ieee_overflow 0
		.amdhsa_exception_fp_ieee_underflow 0
		.amdhsa_exception_fp_ieee_inexact 0
		.amdhsa_exception_int_div_zero 0
	.end_amdhsa_kernel
	.section	.text._ZN9rocsparseL26coomvn_aos_segmented_loopsILj256ElaaiiEEvlT0_NS_24const_host_device_scalarIT4_EEPKS1_PKT1_PKT2_PT3_PS1_PS3_21rocsparse_index_base_b,"axG",@progbits,_ZN9rocsparseL26coomvn_aos_segmented_loopsILj256ElaaiiEEvlT0_NS_24const_host_device_scalarIT4_EEPKS1_PKT1_PKT2_PT3_PS1_PS3_21rocsparse_index_base_b,comdat
.Lfunc_end38:
	.size	_ZN9rocsparseL26coomvn_aos_segmented_loopsILj256ElaaiiEEvlT0_NS_24const_host_device_scalarIT4_EEPKS1_PKT1_PKT2_PT3_PS1_PS3_21rocsparse_index_base_b, .Lfunc_end38-_ZN9rocsparseL26coomvn_aos_segmented_loopsILj256ElaaiiEEvlT0_NS_24const_host_device_scalarIT4_EEPKS1_PKT1_PKT2_PT3_PS1_PS3_21rocsparse_index_base_b
                                        ; -- End function
	.section	.AMDGPU.csdata,"",@progbits
; Kernel info:
; codeLenInByte = 3000
; NumSgprs: 38
; NumVgprs: 33
; ScratchSize: 0
; MemoryBound: 0
; FloatMode: 240
; IeeeMode: 1
; LDSByteSize: 3072 bytes/workgroup (compile time only)
; SGPRBlocks: 4
; VGPRBlocks: 4
; NumSGPRsForWavesPerEU: 38
; NumVGPRsForWavesPerEU: 33
; Occupancy: 16
; WaveLimiterHint : 1
; COMPUTE_PGM_RSRC2:SCRATCH_EN: 0
; COMPUTE_PGM_RSRC2:USER_SGPR: 15
; COMPUTE_PGM_RSRC2:TRAP_HANDLER: 0
; COMPUTE_PGM_RSRC2:TGID_X_EN: 1
; COMPUTE_PGM_RSRC2:TGID_Y_EN: 0
; COMPUTE_PGM_RSRC2:TGID_Z_EN: 0
; COMPUTE_PGM_RSRC2:TIDIG_COMP_CNT: 0
	.section	.text._ZN9rocsparseL29coomvn_segmented_loops_reduceILj256EliiEEvT0_NS_24const_host_device_scalarIT2_EEPKS1_PKS3_PT1_b,"axG",@progbits,_ZN9rocsparseL29coomvn_segmented_loops_reduceILj256EliiEEvT0_NS_24const_host_device_scalarIT2_EEPKS1_PKS3_PT1_b,comdat
	.globl	_ZN9rocsparseL29coomvn_segmented_loops_reduceILj256EliiEEvT0_NS_24const_host_device_scalarIT2_EEPKS1_PKS3_PT1_b ; -- Begin function _ZN9rocsparseL29coomvn_segmented_loops_reduceILj256EliiEEvT0_NS_24const_host_device_scalarIT2_EEPKS1_PKS3_PT1_b
	.p2align	8
	.type	_ZN9rocsparseL29coomvn_segmented_loops_reduceILj256EliiEEvT0_NS_24const_host_device_scalarIT2_EEPKS1_PKS3_PT1_b,@function
_ZN9rocsparseL29coomvn_segmented_loops_reduceILj256EliiEEvT0_NS_24const_host_device_scalarIT2_EEPKS1_PKS3_PT1_b: ; @_ZN9rocsparseL29coomvn_segmented_loops_reduceILj256EliiEEvT0_NS_24const_host_device_scalarIT2_EEPKS1_PKS3_PT1_b
; %bb.0:
	s_clause 0x1
	s_load_b32 s2, s[0:1], 0x28
	s_load_b128 s[12:15], s[0:1], 0x0
	s_mov_b32 s3, 0
	s_waitcnt lgkmcnt(0)
	s_bitcmp0_b32 s2, 0
	s_cbranch_scc0 .LBB39_2
; %bb.1:
	s_load_b32 s2, s[14:15], 0x0
	s_and_not1_b32 vcc_lo, exec_lo, s3
	s_cbranch_vccz .LBB39_3
	s_branch .LBB39_4
.LBB39_2:
                                        ; implicit-def: $sgpr2
.LBB39_3:
	s_waitcnt lgkmcnt(0)
	s_mov_b32 s2, s14
.LBB39_4:
	s_waitcnt lgkmcnt(0)
	s_cmp_eq_u32 s2, 0
	s_cbranch_scc1 .LBB39_46
; %bb.5:
	v_cmp_lt_i64_e64 s2, s[12:13], 1
	s_delay_alu instid0(VALU_DEP_1)
	s_and_b32 vcc_lo, exec_lo, s2
	s_cbranch_vccnz .LBB39_46
; %bb.6:
	s_clause 0x1
	s_load_b128 s[16:19], s[0:1], 0x10
	s_load_b64 s[10:11], s[0:1], 0x20
	v_lshlrev_b32_e32 v9, 3, v0
	v_lshlrev_b32_e32 v3, 2, v0
	v_cmp_ne_u32_e64 s0, 0, v0
	v_cmp_lt_u32_e64 s1, 1, v0
	v_cmp_lt_u32_e64 s2, 3, v0
	v_add_nc_u32_e32 v11, -8, v9
	v_or_b32_e32 v10, 0x800, v3
	v_add_nc_u32_e32 v12, 0x7fc, v3
	v_add_nc_u32_e32 v14, 0x7f8, v3
	;; [unrolled: 1-line block ×8, first 2 shown]
	v_add_nc_u32_e32 v13, -16, v9
	v_subrev_nc_u32_e32 v15, 32, v9
	v_cmp_lt_u32_e64 s3, 7, v0
	s_waitcnt lgkmcnt(0)
	v_add_co_u32 v1, s9, s16, v9
	s_delay_alu instid0(VALU_DEP_1)
	v_add_co_ci_u32_e64 v2, null, s17, 0, s9
	v_add_co_u32 v3, s9, s18, v3
	v_subrev_nc_u32_e32 v17, 64, v9
	v_cmp_lt_u32_e64 s4, 15, v0
	v_add_nc_u32_e32 v19, 0xffffff80, v9
	v_cmp_lt_u32_e64 s5, 31, v0
	v_add_nc_u32_e32 v21, 0xffffff00, v9
	;; [unrolled: 2-line block ×4, first 2 shown]
	v_cmp_gt_u32_e64 s8, 0xff, v0
	v_add_co_ci_u32_e64 v4, null, s19, 0, s9
	s_mov_b64 s[14:15], 0
	s_branch .LBB39_8
.LBB39_7:                               ;   in Loop: Header=BB39_8 Depth=1
	s_or_b32 exec_lo, exec_lo, s9
	s_add_u32 s14, s14, 0x100
	s_addc_u32 s15, s15, 0
	v_add_co_u32 v1, vcc_lo, 0x800, v1
	v_cmp_lt_i64_e64 s9, s[14:15], s[12:13]
	v_add_co_ci_u32_e32 v2, vcc_lo, 0, v2, vcc_lo
	v_add_co_u32 v3, vcc_lo, 0x400, v3
	v_add_co_ci_u32_e32 v4, vcc_lo, 0, v4, vcc_lo
	s_delay_alu instid0(VALU_DEP_4)
	s_and_b32 vcc_lo, exec_lo, s9
	s_waitcnt_vscnt null, 0x0
	s_barrier
	buffer_gl0_inv
	s_cbranch_vccz .LBB39_46
.LBB39_8:                               ; =>This Inner Loop Header: Depth=1
	v_add_co_u32 v5, s9, v0, s14
	s_delay_alu instid0(VALU_DEP_1) | instskip(SKIP_1) | instid1(VALU_DEP_2)
	v_add_co_ci_u32_e64 v6, null, 0, s15, s9
	v_mov_b32_e32 v7, 0
	v_cmp_gt_i64_e32 vcc_lo, s[12:13], v[5:6]
	v_mov_b32_e32 v5, -1
	v_mov_b32_e32 v6, -1
	s_and_saveexec_b32 s9, vcc_lo
	s_cbranch_execz .LBB39_10
; %bb.9:                                ;   in Loop: Header=BB39_8 Depth=1
	global_load_b64 v[5:6], v[1:2], off
	global_load_b32 v7, v[3:4], off
.LBB39_10:                              ;   in Loop: Header=BB39_8 Depth=1
	s_or_b32 exec_lo, exec_lo, s9
	s_waitcnt vmcnt(1)
	ds_store_b64 v9, v[5:6]
	v_mov_b32_e32 v5, 0
	s_waitcnt vmcnt(0)
	ds_store_b32 v10, v7
	s_waitcnt lgkmcnt(0)
	s_barrier
	buffer_gl0_inv
	s_and_saveexec_b32 s9, s0
	s_cbranch_execz .LBB39_14
; %bb.11:                               ;   in Loop: Header=BB39_8 Depth=1
	ds_load_2addr_b64 v[5:8], v11 offset1:1
	s_waitcnt lgkmcnt(0)
	v_cmp_eq_u64_e32 vcc_lo, v[7:8], v[5:6]
	v_mov_b32_e32 v5, 0
	s_and_saveexec_b32 s16, vcc_lo
	s_cbranch_execz .LBB39_13
; %bb.12:                               ;   in Loop: Header=BB39_8 Depth=1
	ds_load_b32 v5, v12
.LBB39_13:                              ;   in Loop: Header=BB39_8 Depth=1
	s_or_b32 exec_lo, exec_lo, s16
.LBB39_14:                              ;   in Loop: Header=BB39_8 Depth=1
	s_delay_alu instid0(SALU_CYCLE_1)
	s_or_b32 exec_lo, exec_lo, s9
	s_waitcnt lgkmcnt(0)
	s_barrier
	buffer_gl0_inv
	ds_load_b32 v6, v10
	s_waitcnt lgkmcnt(0)
	v_dual_mov_b32 v6, 0 :: v_dual_add_nc_u32 v7, v6, v5
	v_mov_b32_e32 v5, 0
	ds_store_b32 v10, v7
	s_waitcnt lgkmcnt(0)
	s_barrier
	buffer_gl0_inv
	s_and_saveexec_b32 s9, s1
	s_cbranch_execz .LBB39_18
; %bb.15:                               ;   in Loop: Header=BB39_8 Depth=1
	ds_load_b64 v[6:7], v9
	ds_load_b64 v[27:28], v13
	s_waitcnt lgkmcnt(0)
	v_cmp_eq_u64_e32 vcc_lo, v[6:7], v[27:28]
	v_mov_b32_e32 v6, 0
	s_and_saveexec_b32 s16, vcc_lo
	s_cbranch_execz .LBB39_17
; %bb.16:                               ;   in Loop: Header=BB39_8 Depth=1
	ds_load_b32 v6, v14
.LBB39_17:                              ;   in Loop: Header=BB39_8 Depth=1
	s_or_b32 exec_lo, exec_lo, s16
.LBB39_18:                              ;   in Loop: Header=BB39_8 Depth=1
	s_delay_alu instid0(SALU_CYCLE_1)
	s_or_b32 exec_lo, exec_lo, s9
	s_waitcnt lgkmcnt(0)
	s_barrier
	buffer_gl0_inv
	ds_load_b32 v7, v10
	s_waitcnt lgkmcnt(0)
	v_add_nc_u32_e32 v6, v7, v6
	ds_store_b32 v10, v6
	s_waitcnt lgkmcnt(0)
	s_barrier
	buffer_gl0_inv
	s_and_saveexec_b32 s9, s2
	s_cbranch_execz .LBB39_22
; %bb.19:                               ;   in Loop: Header=BB39_8 Depth=1
	ds_load_b64 v[5:6], v9
	ds_load_b64 v[7:8], v15
	s_waitcnt lgkmcnt(0)
	v_cmp_eq_u64_e32 vcc_lo, v[5:6], v[7:8]
	v_mov_b32_e32 v5, 0
	s_and_saveexec_b32 s16, vcc_lo
	s_cbranch_execz .LBB39_21
; %bb.20:                               ;   in Loop: Header=BB39_8 Depth=1
	ds_load_b32 v5, v16
.LBB39_21:                              ;   in Loop: Header=BB39_8 Depth=1
	s_or_b32 exec_lo, exec_lo, s16
.LBB39_22:                              ;   in Loop: Header=BB39_8 Depth=1
	s_delay_alu instid0(SALU_CYCLE_1)
	s_or_b32 exec_lo, exec_lo, s9
	s_waitcnt lgkmcnt(0)
	s_barrier
	buffer_gl0_inv
	ds_load_b32 v6, v10
	s_waitcnt lgkmcnt(0)
	v_dual_mov_b32 v6, 0 :: v_dual_add_nc_u32 v7, v6, v5
	v_mov_b32_e32 v5, 0
	ds_store_b32 v10, v7
	s_waitcnt lgkmcnt(0)
	s_barrier
	buffer_gl0_inv
	s_and_saveexec_b32 s9, s3
	s_cbranch_execz .LBB39_26
; %bb.23:                               ;   in Loop: Header=BB39_8 Depth=1
	ds_load_b64 v[6:7], v9
	ds_load_b64 v[27:28], v17
	s_waitcnt lgkmcnt(0)
	v_cmp_eq_u64_e32 vcc_lo, v[6:7], v[27:28]
	v_mov_b32_e32 v6, 0
	s_and_saveexec_b32 s16, vcc_lo
	s_cbranch_execz .LBB39_25
; %bb.24:                               ;   in Loop: Header=BB39_8 Depth=1
	ds_load_b32 v6, v18
.LBB39_25:                              ;   in Loop: Header=BB39_8 Depth=1
	s_or_b32 exec_lo, exec_lo, s16
.LBB39_26:                              ;   in Loop: Header=BB39_8 Depth=1
	s_delay_alu instid0(SALU_CYCLE_1)
	s_or_b32 exec_lo, exec_lo, s9
	s_waitcnt lgkmcnt(0)
	s_barrier
	buffer_gl0_inv
	ds_load_b32 v7, v10
	s_waitcnt lgkmcnt(0)
	v_add_nc_u32_e32 v6, v7, v6
	ds_store_b32 v10, v6
	s_waitcnt lgkmcnt(0)
	s_barrier
	buffer_gl0_inv
	s_and_saveexec_b32 s9, s4
	s_cbranch_execz .LBB39_30
; %bb.27:                               ;   in Loop: Header=BB39_8 Depth=1
	ds_load_b64 v[5:6], v9
	ds_load_b64 v[7:8], v19
	s_waitcnt lgkmcnt(0)
	v_cmp_eq_u64_e32 vcc_lo, v[5:6], v[7:8]
	v_mov_b32_e32 v5, 0
	s_and_saveexec_b32 s16, vcc_lo
	s_cbranch_execz .LBB39_29
; %bb.28:                               ;   in Loop: Header=BB39_8 Depth=1
	ds_load_b32 v5, v20
.LBB39_29:                              ;   in Loop: Header=BB39_8 Depth=1
	s_or_b32 exec_lo, exec_lo, s16
.LBB39_30:                              ;   in Loop: Header=BB39_8 Depth=1
	;; [unrolled: 55-line block ×3, first 2 shown]
	s_delay_alu instid0(SALU_CYCLE_1)
	s_or_b32 exec_lo, exec_lo, s9
	s_waitcnt lgkmcnt(0)
	s_barrier
	buffer_gl0_inv
	ds_load_b32 v6, v10
	s_waitcnt lgkmcnt(0)
	v_dual_mov_b32 v5, 0 :: v_dual_add_nc_u32 v6, v6, v5
	ds_store_b32 v10, v6
	s_waitcnt lgkmcnt(0)
	s_barrier
	buffer_gl0_inv
	s_and_saveexec_b32 s9, s7
	s_cbranch_execz .LBB39_42
; %bb.39:                               ;   in Loop: Header=BB39_8 Depth=1
	ds_load_b64 v[5:6], v9
	ds_load_b64 v[7:8], v25
	s_waitcnt lgkmcnt(0)
	v_cmp_eq_u64_e32 vcc_lo, v[5:6], v[7:8]
	v_mov_b32_e32 v5, 0
	s_and_saveexec_b32 s16, vcc_lo
	s_cbranch_execz .LBB39_41
; %bb.40:                               ;   in Loop: Header=BB39_8 Depth=1
	ds_load_b32 v5, v26
.LBB39_41:                              ;   in Loop: Header=BB39_8 Depth=1
	s_or_b32 exec_lo, exec_lo, s16
.LBB39_42:                              ;   in Loop: Header=BB39_8 Depth=1
	s_delay_alu instid0(SALU_CYCLE_1)
	s_or_b32 exec_lo, exec_lo, s9
	s_waitcnt lgkmcnt(0)
	s_barrier
	buffer_gl0_inv
	ds_load_b32 v6, v10
	v_mov_b32_e32 v7, -1
	s_waitcnt lgkmcnt(0)
	v_dual_mov_b32 v8, -1 :: v_dual_add_nc_u32 v5, v6, v5
	ds_store_b32 v10, v5
	s_waitcnt lgkmcnt(0)
	s_barrier
	buffer_gl0_inv
	ds_load_b64 v[5:6], v9
	s_and_saveexec_b32 s9, s8
	s_cbranch_execz .LBB39_44
; %bb.43:                               ;   in Loop: Header=BB39_8 Depth=1
	ds_load_b64 v[7:8], v9 offset:8
.LBB39_44:                              ;   in Loop: Header=BB39_8 Depth=1
	s_or_b32 exec_lo, exec_lo, s9
	s_waitcnt lgkmcnt(0)
	v_cmp_ne_u64_e32 vcc_lo, v[5:6], v[7:8]
	v_cmp_lt_i64_e64 s9, -1, v[5:6]
	s_delay_alu instid0(VALU_DEP_1) | instskip(NEXT) | instid1(SALU_CYCLE_1)
	s_and_b32 s16, s9, vcc_lo
	s_and_saveexec_b32 s9, s16
	s_cbranch_execz .LBB39_7
; %bb.45:                               ;   in Loop: Header=BB39_8 Depth=1
	v_lshlrev_b64 v[5:6], 2, v[5:6]
	ds_load_b32 v8, v10
	v_add_co_u32 v5, vcc_lo, s10, v5
	v_add_co_ci_u32_e32 v6, vcc_lo, s11, v6, vcc_lo
	global_load_b32 v7, v[5:6], off
	s_waitcnt vmcnt(0) lgkmcnt(0)
	v_add_nc_u32_e32 v7, v8, v7
	global_store_b32 v[5:6], v7, off
	s_branch .LBB39_7
.LBB39_46:
	s_endpgm
	.section	.rodata,"a",@progbits
	.p2align	6, 0x0
	.amdhsa_kernel _ZN9rocsparseL29coomvn_segmented_loops_reduceILj256EliiEEvT0_NS_24const_host_device_scalarIT2_EEPKS1_PKS3_PT1_b
		.amdhsa_group_segment_fixed_size 3072
		.amdhsa_private_segment_fixed_size 0
		.amdhsa_kernarg_size 44
		.amdhsa_user_sgpr_count 15
		.amdhsa_user_sgpr_dispatch_ptr 0
		.amdhsa_user_sgpr_queue_ptr 0
		.amdhsa_user_sgpr_kernarg_segment_ptr 1
		.amdhsa_user_sgpr_dispatch_id 0
		.amdhsa_user_sgpr_private_segment_size 0
		.amdhsa_wavefront_size32 1
		.amdhsa_uses_dynamic_stack 0
		.amdhsa_enable_private_segment 0
		.amdhsa_system_sgpr_workgroup_id_x 1
		.amdhsa_system_sgpr_workgroup_id_y 0
		.amdhsa_system_sgpr_workgroup_id_z 0
		.amdhsa_system_sgpr_workgroup_info 0
		.amdhsa_system_vgpr_workitem_id 0
		.amdhsa_next_free_vgpr 29
		.amdhsa_next_free_sgpr 20
		.amdhsa_reserve_vcc 1
		.amdhsa_float_round_mode_32 0
		.amdhsa_float_round_mode_16_64 0
		.amdhsa_float_denorm_mode_32 3
		.amdhsa_float_denorm_mode_16_64 3
		.amdhsa_dx10_clamp 1
		.amdhsa_ieee_mode 1
		.amdhsa_fp16_overflow 0
		.amdhsa_workgroup_processor_mode 1
		.amdhsa_memory_ordered 1
		.amdhsa_forward_progress 0
		.amdhsa_shared_vgpr_count 0
		.amdhsa_exception_fp_ieee_invalid_op 0
		.amdhsa_exception_fp_denorm_src 0
		.amdhsa_exception_fp_ieee_div_zero 0
		.amdhsa_exception_fp_ieee_overflow 0
		.amdhsa_exception_fp_ieee_underflow 0
		.amdhsa_exception_fp_ieee_inexact 0
		.amdhsa_exception_int_div_zero 0
	.end_amdhsa_kernel
	.section	.text._ZN9rocsparseL29coomvn_segmented_loops_reduceILj256EliiEEvT0_NS_24const_host_device_scalarIT2_EEPKS1_PKS3_PT1_b,"axG",@progbits,_ZN9rocsparseL29coomvn_segmented_loops_reduceILj256EliiEEvT0_NS_24const_host_device_scalarIT2_EEPKS1_PKS3_PT1_b,comdat
.Lfunc_end39:
	.size	_ZN9rocsparseL29coomvn_segmented_loops_reduceILj256EliiEEvT0_NS_24const_host_device_scalarIT2_EEPKS1_PKS3_PT1_b, .Lfunc_end39-_ZN9rocsparseL29coomvn_segmented_loops_reduceILj256EliiEEvT0_NS_24const_host_device_scalarIT2_EEPKS1_PKS3_PT1_b
                                        ; -- End function
	.section	.AMDGPU.csdata,"",@progbits
; Kernel info:
; codeLenInByte = 1672
; NumSgprs: 22
; NumVgprs: 29
; ScratchSize: 0
; MemoryBound: 0
; FloatMode: 240
; IeeeMode: 1
; LDSByteSize: 3072 bytes/workgroup (compile time only)
; SGPRBlocks: 2
; VGPRBlocks: 3
; NumSGPRsForWavesPerEU: 22
; NumVGPRsForWavesPerEU: 29
; Occupancy: 16
; WaveLimiterHint : 0
; COMPUTE_PGM_RSRC2:SCRATCH_EN: 0
; COMPUTE_PGM_RSRC2:USER_SGPR: 15
; COMPUTE_PGM_RSRC2:TRAP_HANDLER: 0
; COMPUTE_PGM_RSRC2:TGID_X_EN: 1
; COMPUTE_PGM_RSRC2:TGID_Y_EN: 0
; COMPUTE_PGM_RSRC2:TGID_Z_EN: 0
; COMPUTE_PGM_RSRC2:TIDIG_COMP_CNT: 0
	.section	.text._ZN9rocsparseL23coomvn_aos_atomic_loopsILj256ELj1EiaaffEEvlNS_24const_host_device_scalarIT5_EEPKT1_PKT2_PKT3_PT4_21rocsparse_index_base_b,"axG",@progbits,_ZN9rocsparseL23coomvn_aos_atomic_loopsILj256ELj1EiaaffEEvlNS_24const_host_device_scalarIT5_EEPKT1_PKT2_PKT3_PT4_21rocsparse_index_base_b,comdat
	.globl	_ZN9rocsparseL23coomvn_aos_atomic_loopsILj256ELj1EiaaffEEvlNS_24const_host_device_scalarIT5_EEPKT1_PKT2_PKT3_PT4_21rocsparse_index_base_b ; -- Begin function _ZN9rocsparseL23coomvn_aos_atomic_loopsILj256ELj1EiaaffEEvlNS_24const_host_device_scalarIT5_EEPKT1_PKT2_PKT3_PT4_21rocsparse_index_base_b
	.p2align	8
	.type	_ZN9rocsparseL23coomvn_aos_atomic_loopsILj256ELj1EiaaffEEvlNS_24const_host_device_scalarIT5_EEPKT1_PKT2_PKT3_PT4_21rocsparse_index_base_b,@function
_ZN9rocsparseL23coomvn_aos_atomic_loopsILj256ELj1EiaaffEEvlNS_24const_host_device_scalarIT5_EEPKT1_PKT2_PKT3_PT4_21rocsparse_index_base_b: ; @_ZN9rocsparseL23coomvn_aos_atomic_loopsILj256ELj1EiaaffEEvlNS_24const_host_device_scalarIT5_EEPKT1_PKT2_PKT3_PT4_21rocsparse_index_base_b
; %bb.0:
	s_clause 0x1
	s_load_b64 s[2:3], s[0:1], 0x30
	s_load_b128 s[4:7], s[0:1], 0x0
	s_waitcnt lgkmcnt(0)
	s_bitcmp1_b32 s3, 0
	s_cselect_b32 s3, -1, 0
	s_delay_alu instid0(SALU_CYCLE_1)
	s_and_b32 vcc_lo, exec_lo, s3
	s_cbranch_vccnz .LBB40_2
; %bb.1:
	s_load_b32 s6, s[6:7], 0x0
.LBB40_2:
	s_waitcnt lgkmcnt(0)
	v_cmp_eq_f32_e64 s3, s6, 0
	s_delay_alu instid0(VALU_DEP_1)
	s_and_b32 vcc_lo, exec_lo, s3
	s_cbranch_vccnz .LBB40_44
; %bb.3:
	v_lshl_or_b32 v1, s15, 8, v0
	v_dual_mov_b32 v2, 0 :: v_dual_mov_b32 v3, -1
	s_mov_b32 s3, exec_lo
	s_delay_alu instid0(VALU_DEP_1)
	v_cmpx_gt_i64_e64 s[4:5], v[1:2]
	s_cbranch_execz .LBB40_5
; %bb.4:
	s_clause 0x1
	s_load_b128 s[8:11], s[0:1], 0x10
	s_load_b64 s[4:5], s[0:1], 0x20
	v_lshlrev_b64 v[2:3], 3, v[1:2]
	s_waitcnt lgkmcnt(0)
	s_delay_alu instid0(VALU_DEP_1) | instskip(NEXT) | instid1(VALU_DEP_2)
	v_add_co_u32 v2, vcc_lo, s8, v2
	v_add_co_ci_u32_e32 v3, vcc_lo, s9, v3, vcc_lo
	global_load_b64 v[2:3], v[2:3], off slc dlc
	s_waitcnt vmcnt(0)
	v_subrev_nc_u32_e32 v5, s2, v3
	v_add_co_u32 v3, s7, s10, v1
	s_delay_alu instid0(VALU_DEP_1) | instskip(NEXT) | instid1(VALU_DEP_3)
	v_add_co_ci_u32_e64 v4, null, s11, 0, s7
	v_ashrrev_i32_e32 v6, 31, v5
	v_add_co_u32 v5, vcc_lo, s4, v5
	s_delay_alu instid0(VALU_DEP_2)
	v_add_co_ci_u32_e32 v6, vcc_lo, s5, v6, vcc_lo
	global_load_i8 v1, v[3:4], off slc dlc
	global_load_i8 v3, v[5:6], off
	s_waitcnt vmcnt(1)
	v_cvt_f32_i32_e32 v1, v1
	s_waitcnt vmcnt(0)
	v_cvt_f32_i32_e32 v4, v3
	v_subrev_nc_u32_e32 v3, s2, v2
	s_delay_alu instid0(VALU_DEP_2)
	v_mul_f32_e32 v2, v1, v4
.LBB40_5:
	s_or_b32 exec_lo, exec_lo, s3
	v_lshlrev_b32_e32 v1, 2, v0
	s_mov_b32 s2, exec_lo
	s_delay_alu instid0(VALU_DEP_1)
	v_or_b32_e32 v4, 0x400, v1
	ds_store_2addr_stride64_b32 v1, v3, v2 offset1:4
	s_waitcnt lgkmcnt(0)
	s_barrier
	buffer_gl0_inv
	v_cmpx_ne_u32_e32 0, v0
	s_cbranch_execz .LBB40_9
; %bb.6:
	v_add_nc_u32_e32 v5, -4, v1
	s_mov_b32 s3, exec_lo
	ds_load_b32 v5, v5
	s_waitcnt lgkmcnt(0)
	v_cmpx_eq_u32_e64 v3, v5
	s_cbranch_execz .LBB40_8
; %bb.7:
	v_add_nc_u32_e32 v5, -4, v4
	ds_load_b32 v5, v5
	s_waitcnt lgkmcnt(0)
	v_add_f32_e32 v2, v2, v5
.LBB40_8:
	s_or_b32 exec_lo, exec_lo, s3
.LBB40_9:
	s_delay_alu instid0(SALU_CYCLE_1) | instskip(NEXT) | instid1(SALU_CYCLE_1)
	s_or_b32 exec_lo, exec_lo, s2
	s_mov_b32 s2, exec_lo
	s_barrier
	buffer_gl0_inv
	ds_store_b32 v4, v2
	s_waitcnt lgkmcnt(0)
	s_barrier
	buffer_gl0_inv
	v_cmpx_lt_u32_e32 1, v0
	s_cbranch_execz .LBB40_13
; %bb.10:
	v_add_nc_u32_e32 v5, -8, v1
	s_mov_b32 s3, exec_lo
	ds_load_b32 v5, v5
	s_waitcnt lgkmcnt(0)
	v_cmpx_eq_u32_e64 v3, v5
	s_cbranch_execz .LBB40_12
; %bb.11:
	v_add_nc_u32_e32 v5, -8, v4
	ds_load_b32 v5, v5
	s_waitcnt lgkmcnt(0)
	v_add_f32_e32 v2, v2, v5
.LBB40_12:
	s_or_b32 exec_lo, exec_lo, s3
.LBB40_13:
	s_delay_alu instid0(SALU_CYCLE_1) | instskip(NEXT) | instid1(SALU_CYCLE_1)
	s_or_b32 exec_lo, exec_lo, s2
	s_mov_b32 s2, exec_lo
	s_barrier
	buffer_gl0_inv
	ds_store_b32 v4, v2
	s_waitcnt lgkmcnt(0)
	s_barrier
	buffer_gl0_inv
	v_cmpx_lt_u32_e32 3, v0
	s_cbranch_execz .LBB40_17
; %bb.14:
	v_add_nc_u32_e32 v5, -16, v1
	s_mov_b32 s3, exec_lo
	ds_load_b32 v5, v5
	s_waitcnt lgkmcnt(0)
	v_cmpx_eq_u32_e64 v3, v5
	s_cbranch_execz .LBB40_16
; %bb.15:
	v_add_nc_u32_e32 v5, -16, v4
	ds_load_b32 v5, v5
	s_waitcnt lgkmcnt(0)
	v_add_f32_e32 v2, v2, v5
.LBB40_16:
	s_or_b32 exec_lo, exec_lo, s3
.LBB40_17:
	s_delay_alu instid0(SALU_CYCLE_1) | instskip(NEXT) | instid1(SALU_CYCLE_1)
	s_or_b32 exec_lo, exec_lo, s2
	s_mov_b32 s2, exec_lo
	s_barrier
	buffer_gl0_inv
	ds_store_b32 v4, v2
	s_waitcnt lgkmcnt(0)
	s_barrier
	buffer_gl0_inv
	v_cmpx_lt_u32_e32 7, v0
	s_cbranch_execz .LBB40_21
; %bb.18:
	v_subrev_nc_u32_e32 v5, 32, v1
	s_mov_b32 s3, exec_lo
	ds_load_b32 v5, v5
	s_waitcnt lgkmcnt(0)
	v_cmpx_eq_u32_e64 v3, v5
	s_cbranch_execz .LBB40_20
; %bb.19:
	v_subrev_nc_u32_e32 v5, 32, v4
	ds_load_b32 v5, v5
	s_waitcnt lgkmcnt(0)
	v_add_f32_e32 v2, v2, v5
.LBB40_20:
	s_or_b32 exec_lo, exec_lo, s3
.LBB40_21:
	s_delay_alu instid0(SALU_CYCLE_1) | instskip(NEXT) | instid1(SALU_CYCLE_1)
	s_or_b32 exec_lo, exec_lo, s2
	s_mov_b32 s2, exec_lo
	s_barrier
	buffer_gl0_inv
	ds_store_b32 v4, v2
	s_waitcnt lgkmcnt(0)
	s_barrier
	buffer_gl0_inv
	v_cmpx_lt_u32_e32 15, v0
	s_cbranch_execz .LBB40_25
; %bb.22:
	v_subrev_nc_u32_e32 v5, 64, v1
	s_mov_b32 s3, exec_lo
	ds_load_b32 v5, v5
	s_waitcnt lgkmcnt(0)
	v_cmpx_eq_u32_e64 v3, v5
	s_cbranch_execz .LBB40_24
; %bb.23:
	v_subrev_nc_u32_e32 v5, 64, v4
	ds_load_b32 v5, v5
	s_waitcnt lgkmcnt(0)
	v_add_f32_e32 v2, v2, v5
.LBB40_24:
	s_or_b32 exec_lo, exec_lo, s3
.LBB40_25:
	s_delay_alu instid0(SALU_CYCLE_1) | instskip(NEXT) | instid1(SALU_CYCLE_1)
	s_or_b32 exec_lo, exec_lo, s2
	s_mov_b32 s2, exec_lo
	s_barrier
	buffer_gl0_inv
	ds_store_b32 v4, v2
	s_waitcnt lgkmcnt(0)
	s_barrier
	buffer_gl0_inv
	v_cmpx_lt_u32_e32 31, v0
	s_cbranch_execz .LBB40_29
; %bb.26:
	v_add_nc_u32_e32 v5, 0xffffff80, v1
	s_mov_b32 s3, exec_lo
	ds_load_b32 v5, v5
	s_waitcnt lgkmcnt(0)
	v_cmpx_eq_u32_e64 v3, v5
	s_cbranch_execz .LBB40_28
; %bb.27:
	v_add_nc_u32_e32 v5, 0xffffff80, v4
	ds_load_b32 v5, v5
	s_waitcnt lgkmcnt(0)
	v_add_f32_e32 v2, v2, v5
.LBB40_28:
	s_or_b32 exec_lo, exec_lo, s3
.LBB40_29:
	s_delay_alu instid0(SALU_CYCLE_1) | instskip(NEXT) | instid1(SALU_CYCLE_1)
	s_or_b32 exec_lo, exec_lo, s2
	s_mov_b32 s2, exec_lo
	s_barrier
	buffer_gl0_inv
	ds_store_b32 v4, v2
	s_waitcnt lgkmcnt(0)
	s_barrier
	buffer_gl0_inv
	v_cmpx_lt_u32_e32 63, v0
	s_cbranch_execz .LBB40_33
; %bb.30:
	v_add_nc_u32_e32 v5, 0xffffff00, v1
	s_mov_b32 s3, exec_lo
	ds_load_b32 v5, v5
	s_waitcnt lgkmcnt(0)
	v_cmpx_eq_u32_e64 v3, v5
	s_cbranch_execz .LBB40_32
; %bb.31:
	v_add_nc_u32_e32 v5, 0xffffff00, v4
	ds_load_b32 v5, v5
	s_waitcnt lgkmcnt(0)
	v_add_f32_e32 v2, v2, v5
.LBB40_32:
	s_or_b32 exec_lo, exec_lo, s3
.LBB40_33:
	s_delay_alu instid0(SALU_CYCLE_1)
	s_or_b32 exec_lo, exec_lo, s2
	s_load_b64 s[2:3], s[0:1], 0x28
	s_mov_b32 s0, exec_lo
	s_waitcnt lgkmcnt(0)
	s_barrier
	buffer_gl0_inv
	ds_store_b32 v4, v2
	s_waitcnt lgkmcnt(0)
	s_barrier
	buffer_gl0_inv
	v_cmpx_lt_u32_e32 0x7f, v0
	s_cbranch_execz .LBB40_37
; %bb.34:
	v_add_nc_u32_e32 v5, 0xfffffe00, v1
	s_mov_b32 s1, exec_lo
	ds_load_b32 v5, v5
	s_waitcnt lgkmcnt(0)
	v_cmpx_eq_u32_e64 v3, v5
	s_cbranch_execz .LBB40_36
; %bb.35:
	v_add_nc_u32_e32 v5, 0xfffffe00, v4
	ds_load_b32 v5, v5
	s_waitcnt lgkmcnt(0)
	v_add_f32_e32 v2, v2, v5
.LBB40_36:
	s_or_b32 exec_lo, exec_lo, s1
.LBB40_37:
	s_delay_alu instid0(SALU_CYCLE_1) | instskip(NEXT) | instid1(SALU_CYCLE_1)
	s_or_b32 exec_lo, exec_lo, s0
	s_mov_b32 s1, exec_lo
	s_barrier
	buffer_gl0_inv
	ds_store_b32 v4, v2
	s_waitcnt lgkmcnt(0)
	s_barrier
	buffer_gl0_inv
	v_cmpx_gt_u32_e32 0xff, v0
	s_cbranch_execz .LBB40_41
; %bb.38:
	ds_load_b32 v1, v1 offset:4
	v_cmp_lt_i32_e64 s0, -1, v3
	s_waitcnt lgkmcnt(0)
	v_cmp_ne_u32_e32 vcc_lo, v3, v1
	s_delay_alu instid0(VALU_DEP_2) | instskip(NEXT) | instid1(SALU_CYCLE_1)
	s_and_b32 s0, s0, vcc_lo
	s_and_b32 exec_lo, exec_lo, s0
	s_cbranch_execz .LBB40_41
; %bb.39:
	v_dual_mov_b32 v4, 0 :: v_dual_mul_f32 v1, s6, v2
	s_mov_b32 s0, 0
	s_delay_alu instid0(VALU_DEP_1) | instskip(NEXT) | instid1(VALU_DEP_1)
	v_lshlrev_b64 v[4:5], 2, v[3:4]
	v_add_co_u32 v4, vcc_lo, s2, v4
	s_delay_alu instid0(VALU_DEP_2)
	v_add_co_ci_u32_e32 v5, vcc_lo, s3, v5, vcc_lo
	global_load_b32 v7, v[4:5], off
.LBB40_40:                              ; =>This Inner Loop Header: Depth=1
	s_waitcnt vmcnt(0)
	v_add_f32_e32 v6, v7, v1
	global_atomic_cmpswap_b32 v6, v[4:5], v[6:7], off glc
	s_waitcnt vmcnt(0)
	v_cmp_eq_u32_e32 vcc_lo, v6, v7
	v_mov_b32_e32 v7, v6
	s_or_b32 s0, vcc_lo, s0
	s_delay_alu instid0(SALU_CYCLE_1)
	s_and_not1_b32 exec_lo, exec_lo, s0
	s_cbranch_execnz .LBB40_40
.LBB40_41:
	s_or_b32 exec_lo, exec_lo, s1
	v_cmp_eq_u32_e32 vcc_lo, 0xff, v0
	v_cmp_lt_i32_e64 s0, -1, v3
	s_delay_alu instid0(VALU_DEP_1) | instskip(NEXT) | instid1(SALU_CYCLE_1)
	s_and_b32 s0, vcc_lo, s0
	s_and_saveexec_b32 s1, s0
	s_cbranch_execz .LBB40_44
; %bb.42:
	v_mov_b32_e32 v4, 0
	s_mov_b32 s0, 0
	s_delay_alu instid0(VALU_DEP_1) | instskip(SKIP_1) | instid1(VALU_DEP_2)
	v_lshlrev_b64 v[0:1], 2, v[3:4]
	v_mul_f32_e32 v4, s6, v2
	v_add_co_u32 v0, vcc_lo, s2, v0
	s_delay_alu instid0(VALU_DEP_3)
	v_add_co_ci_u32_e32 v1, vcc_lo, s3, v1, vcc_lo
	global_load_b32 v3, v[0:1], off
.LBB40_43:                              ; =>This Inner Loop Header: Depth=1
	s_waitcnt vmcnt(0)
	v_add_f32_e32 v2, v3, v4
	global_atomic_cmpswap_b32 v2, v[0:1], v[2:3], off glc
	s_waitcnt vmcnt(0)
	v_cmp_eq_u32_e32 vcc_lo, v2, v3
	v_mov_b32_e32 v3, v2
	s_or_b32 s0, vcc_lo, s0
	s_delay_alu instid0(SALU_CYCLE_1)
	s_and_not1_b32 exec_lo, exec_lo, s0
	s_cbranch_execnz .LBB40_43
.LBB40_44:
	s_endpgm
	.section	.rodata,"a",@progbits
	.p2align	6, 0x0
	.amdhsa_kernel _ZN9rocsparseL23coomvn_aos_atomic_loopsILj256ELj1EiaaffEEvlNS_24const_host_device_scalarIT5_EEPKT1_PKT2_PKT3_PT4_21rocsparse_index_base_b
		.amdhsa_group_segment_fixed_size 2048
		.amdhsa_private_segment_fixed_size 0
		.amdhsa_kernarg_size 56
		.amdhsa_user_sgpr_count 15
		.amdhsa_user_sgpr_dispatch_ptr 0
		.amdhsa_user_sgpr_queue_ptr 0
		.amdhsa_user_sgpr_kernarg_segment_ptr 1
		.amdhsa_user_sgpr_dispatch_id 0
		.amdhsa_user_sgpr_private_segment_size 0
		.amdhsa_wavefront_size32 1
		.amdhsa_uses_dynamic_stack 0
		.amdhsa_enable_private_segment 0
		.amdhsa_system_sgpr_workgroup_id_x 1
		.amdhsa_system_sgpr_workgroup_id_y 0
		.amdhsa_system_sgpr_workgroup_id_z 0
		.amdhsa_system_sgpr_workgroup_info 0
		.amdhsa_system_vgpr_workitem_id 0
		.amdhsa_next_free_vgpr 8
		.amdhsa_next_free_sgpr 16
		.amdhsa_reserve_vcc 1
		.amdhsa_float_round_mode_32 0
		.amdhsa_float_round_mode_16_64 0
		.amdhsa_float_denorm_mode_32 3
		.amdhsa_float_denorm_mode_16_64 3
		.amdhsa_dx10_clamp 1
		.amdhsa_ieee_mode 1
		.amdhsa_fp16_overflow 0
		.amdhsa_workgroup_processor_mode 1
		.amdhsa_memory_ordered 1
		.amdhsa_forward_progress 0
		.amdhsa_shared_vgpr_count 0
		.amdhsa_exception_fp_ieee_invalid_op 0
		.amdhsa_exception_fp_denorm_src 0
		.amdhsa_exception_fp_ieee_div_zero 0
		.amdhsa_exception_fp_ieee_overflow 0
		.amdhsa_exception_fp_ieee_underflow 0
		.amdhsa_exception_fp_ieee_inexact 0
		.amdhsa_exception_int_div_zero 0
	.end_amdhsa_kernel
	.section	.text._ZN9rocsparseL23coomvn_aos_atomic_loopsILj256ELj1EiaaffEEvlNS_24const_host_device_scalarIT5_EEPKT1_PKT2_PKT3_PT4_21rocsparse_index_base_b,"axG",@progbits,_ZN9rocsparseL23coomvn_aos_atomic_loopsILj256ELj1EiaaffEEvlNS_24const_host_device_scalarIT5_EEPKT1_PKT2_PKT3_PT4_21rocsparse_index_base_b,comdat
.Lfunc_end40:
	.size	_ZN9rocsparseL23coomvn_aos_atomic_loopsILj256ELj1EiaaffEEvlNS_24const_host_device_scalarIT5_EEPKT1_PKT2_PKT3_PT4_21rocsparse_index_base_b, .Lfunc_end40-_ZN9rocsparseL23coomvn_aos_atomic_loopsILj256ELj1EiaaffEEvlNS_24const_host_device_scalarIT5_EEPKT1_PKT2_PKT3_PT4_21rocsparse_index_base_b
                                        ; -- End function
	.section	.AMDGPU.csdata,"",@progbits
; Kernel info:
; codeLenInByte = 1520
; NumSgprs: 18
; NumVgprs: 8
; ScratchSize: 0
; MemoryBound: 0
; FloatMode: 240
; IeeeMode: 1
; LDSByteSize: 2048 bytes/workgroup (compile time only)
; SGPRBlocks: 2
; VGPRBlocks: 0
; NumSGPRsForWavesPerEU: 18
; NumVGPRsForWavesPerEU: 8
; Occupancy: 16
; WaveLimiterHint : 1
; COMPUTE_PGM_RSRC2:SCRATCH_EN: 0
; COMPUTE_PGM_RSRC2:USER_SGPR: 15
; COMPUTE_PGM_RSRC2:TRAP_HANDLER: 0
; COMPUTE_PGM_RSRC2:TGID_X_EN: 1
; COMPUTE_PGM_RSRC2:TGID_Y_EN: 0
; COMPUTE_PGM_RSRC2:TGID_Z_EN: 0
; COMPUTE_PGM_RSRC2:TIDIG_COMP_CNT: 0
	.section	.text._ZN9rocsparseL17coomvt_aos_kernelILj1024EiaaffEEv20rocsparse_operation_lNS_24const_host_device_scalarIT4_EEPKT0_PKT1_PKT2_PT3_21rocsparse_index_base_b,"axG",@progbits,_ZN9rocsparseL17coomvt_aos_kernelILj1024EiaaffEEv20rocsparse_operation_lNS_24const_host_device_scalarIT4_EEPKT0_PKT1_PKT2_PT3_21rocsparse_index_base_b,comdat
	.globl	_ZN9rocsparseL17coomvt_aos_kernelILj1024EiaaffEEv20rocsparse_operation_lNS_24const_host_device_scalarIT4_EEPKT0_PKT1_PKT2_PT3_21rocsparse_index_base_b ; -- Begin function _ZN9rocsparseL17coomvt_aos_kernelILj1024EiaaffEEv20rocsparse_operation_lNS_24const_host_device_scalarIT4_EEPKT0_PKT1_PKT2_PT3_21rocsparse_index_base_b
	.p2align	8
	.type	_ZN9rocsparseL17coomvt_aos_kernelILj1024EiaaffEEv20rocsparse_operation_lNS_24const_host_device_scalarIT4_EEPKT0_PKT1_PKT2_PT3_21rocsparse_index_base_b,@function
_ZN9rocsparseL17coomvt_aos_kernelILj1024EiaaffEEv20rocsparse_operation_lNS_24const_host_device_scalarIT4_EEPKT0_PKT1_PKT2_PT3_21rocsparse_index_base_b: ; @_ZN9rocsparseL17coomvt_aos_kernelILj1024EiaaffEEv20rocsparse_operation_lNS_24const_host_device_scalarIT4_EEPKT0_PKT1_PKT2_PT3_21rocsparse_index_base_b
; %bb.0:
	s_clause 0x1
	s_load_b64 s[2:3], s[0:1], 0x38
	s_load_b128 s[4:7], s[0:1], 0x8
	s_waitcnt lgkmcnt(0)
	s_bitcmp1_b32 s3, 0
	s_cselect_b32 s3, -1, 0
	s_delay_alu instid0(SALU_CYCLE_1)
	s_and_b32 vcc_lo, exec_lo, s3
	s_cbranch_vccnz .LBB41_2
; %bb.1:
	s_load_b32 s6, s[6:7], 0x0
.LBB41_2:
	s_waitcnt lgkmcnt(0)
	v_cmp_eq_f32_e64 s3, s6, 0
	s_delay_alu instid0(VALU_DEP_1)
	s_and_b32 vcc_lo, exec_lo, s3
	s_cbranch_vccnz .LBB41_6
; %bb.3:
	s_load_b32 s3, s[0:1], 0x4c
	s_waitcnt lgkmcnt(0)
	s_and_b32 s3, s3, 0xffff
	s_delay_alu instid0(SALU_CYCLE_1) | instskip(SKIP_2) | instid1(VALU_DEP_1)
	v_mad_u64_u32 v[1:2], null, s15, s3, v[0:1]
	v_mov_b32_e32 v2, 0
	s_mov_b32 s3, exec_lo
	v_cmpx_gt_i64_e64 s[4:5], v[1:2]
	s_cbranch_execz .LBB41_6
; %bb.4:
	s_load_b256 s[8:15], s[0:1], 0x18
	v_lshlrev_b64 v[2:3], 3, v[1:2]
	s_waitcnt lgkmcnt(0)
	s_delay_alu instid0(VALU_DEP_1) | instskip(NEXT) | instid1(VALU_DEP_2)
	v_add_co_u32 v2, vcc_lo, s8, v2
	v_add_co_ci_u32_e32 v3, vcc_lo, s9, v3, vcc_lo
	v_add_co_u32 v0, s0, s10, v1
	s_delay_alu instid0(VALU_DEP_1)
	v_add_co_ci_u32_e64 v1, null, s11, 0, s0
	global_load_b64 v[2:3], v[2:3], off
	s_mov_b32 s0, 0
	global_load_i8 v5, v[0:1], off
	s_waitcnt vmcnt(1)
	v_subrev_nc_u32_e32 v4, s2, v2
	v_subrev_nc_u32_e32 v2, s2, v3
	s_delay_alu instid0(VALU_DEP_2) | instskip(NEXT) | instid1(VALU_DEP_2)
	v_ashrrev_i32_e32 v1, 31, v4
	v_ashrrev_i32_e32 v3, 31, v2
	v_add_co_u32 v0, vcc_lo, s12, v4
	s_delay_alu instid0(VALU_DEP_3) | instskip(NEXT) | instid1(VALU_DEP_3)
	v_add_co_ci_u32_e32 v1, vcc_lo, s13, v1, vcc_lo
	v_lshlrev_b64 v[2:3], 2, v[2:3]
	global_load_i8 v4, v[0:1], off
	v_add_co_u32 v0, vcc_lo, s14, v2
	v_add_co_ci_u32_e32 v1, vcc_lo, s15, v3, vcc_lo
	s_waitcnt vmcnt(1)
	v_cvt_f32_i32_e32 v2, v5
	global_load_b32 v3, v[0:1], off
	v_mul_f32_e32 v2, s6, v2
	s_waitcnt vmcnt(1)
	v_cvt_f32_i32_e32 v4, v4
	s_delay_alu instid0(VALU_DEP_1)
	v_mul_f32_e32 v4, v2, v4
.LBB41_5:                               ; =>This Inner Loop Header: Depth=1
	s_waitcnt vmcnt(0)
	s_delay_alu instid0(VALU_DEP_1)
	v_add_f32_e32 v2, v3, v4
	global_atomic_cmpswap_b32 v2, v[0:1], v[2:3], off glc
	s_waitcnt vmcnt(0)
	v_cmp_eq_u32_e32 vcc_lo, v2, v3
	v_mov_b32_e32 v3, v2
	s_or_b32 s0, vcc_lo, s0
	s_delay_alu instid0(SALU_CYCLE_1)
	s_and_not1_b32 exec_lo, exec_lo, s0
	s_cbranch_execnz .LBB41_5
.LBB41_6:
	s_endpgm
	.section	.rodata,"a",@progbits
	.p2align	6, 0x0
	.amdhsa_kernel _ZN9rocsparseL17coomvt_aos_kernelILj1024EiaaffEEv20rocsparse_operation_lNS_24const_host_device_scalarIT4_EEPKT0_PKT1_PKT2_PT3_21rocsparse_index_base_b
		.amdhsa_group_segment_fixed_size 0
		.amdhsa_private_segment_fixed_size 0
		.amdhsa_kernarg_size 320
		.amdhsa_user_sgpr_count 15
		.amdhsa_user_sgpr_dispatch_ptr 0
		.amdhsa_user_sgpr_queue_ptr 0
		.amdhsa_user_sgpr_kernarg_segment_ptr 1
		.amdhsa_user_sgpr_dispatch_id 0
		.amdhsa_user_sgpr_private_segment_size 0
		.amdhsa_wavefront_size32 1
		.amdhsa_uses_dynamic_stack 0
		.amdhsa_enable_private_segment 0
		.amdhsa_system_sgpr_workgroup_id_x 1
		.amdhsa_system_sgpr_workgroup_id_y 0
		.amdhsa_system_sgpr_workgroup_id_z 0
		.amdhsa_system_sgpr_workgroup_info 0
		.amdhsa_system_vgpr_workitem_id 0
		.amdhsa_next_free_vgpr 6
		.amdhsa_next_free_sgpr 16
		.amdhsa_reserve_vcc 1
		.amdhsa_float_round_mode_32 0
		.amdhsa_float_round_mode_16_64 0
		.amdhsa_float_denorm_mode_32 3
		.amdhsa_float_denorm_mode_16_64 3
		.amdhsa_dx10_clamp 1
		.amdhsa_ieee_mode 1
		.amdhsa_fp16_overflow 0
		.amdhsa_workgroup_processor_mode 1
		.amdhsa_memory_ordered 1
		.amdhsa_forward_progress 0
		.amdhsa_shared_vgpr_count 0
		.amdhsa_exception_fp_ieee_invalid_op 0
		.amdhsa_exception_fp_denorm_src 0
		.amdhsa_exception_fp_ieee_div_zero 0
		.amdhsa_exception_fp_ieee_overflow 0
		.amdhsa_exception_fp_ieee_underflow 0
		.amdhsa_exception_fp_ieee_inexact 0
		.amdhsa_exception_int_div_zero 0
	.end_amdhsa_kernel
	.section	.text._ZN9rocsparseL17coomvt_aos_kernelILj1024EiaaffEEv20rocsparse_operation_lNS_24const_host_device_scalarIT4_EEPKT0_PKT1_PKT2_PT3_21rocsparse_index_base_b,"axG",@progbits,_ZN9rocsparseL17coomvt_aos_kernelILj1024EiaaffEEv20rocsparse_operation_lNS_24const_host_device_scalarIT4_EEPKT0_PKT1_PKT2_PT3_21rocsparse_index_base_b,comdat
.Lfunc_end41:
	.size	_ZN9rocsparseL17coomvt_aos_kernelILj1024EiaaffEEv20rocsparse_operation_lNS_24const_host_device_scalarIT4_EEPKT0_PKT1_PKT2_PT3_21rocsparse_index_base_b, .Lfunc_end41-_ZN9rocsparseL17coomvt_aos_kernelILj1024EiaaffEEv20rocsparse_operation_lNS_24const_host_device_scalarIT4_EEPKT0_PKT1_PKT2_PT3_21rocsparse_index_base_b
                                        ; -- End function
	.section	.AMDGPU.csdata,"",@progbits
; Kernel info:
; codeLenInByte = 360
; NumSgprs: 18
; NumVgprs: 6
; ScratchSize: 0
; MemoryBound: 0
; FloatMode: 240
; IeeeMode: 1
; LDSByteSize: 0 bytes/workgroup (compile time only)
; SGPRBlocks: 2
; VGPRBlocks: 0
; NumSGPRsForWavesPerEU: 18
; NumVGPRsForWavesPerEU: 6
; Occupancy: 16
; WaveLimiterHint : 1
; COMPUTE_PGM_RSRC2:SCRATCH_EN: 0
; COMPUTE_PGM_RSRC2:USER_SGPR: 15
; COMPUTE_PGM_RSRC2:TRAP_HANDLER: 0
; COMPUTE_PGM_RSRC2:TGID_X_EN: 1
; COMPUTE_PGM_RSRC2:TGID_Y_EN: 0
; COMPUTE_PGM_RSRC2:TGID_Z_EN: 0
; COMPUTE_PGM_RSRC2:TIDIG_COMP_CNT: 0
	.section	.text._ZN9rocsparseL26coomvn_aos_segmented_loopsILj256EiaaffEEvlT0_NS_24const_host_device_scalarIT4_EEPKS1_PKT1_PKT2_PT3_PS1_PS3_21rocsparse_index_base_b,"axG",@progbits,_ZN9rocsparseL26coomvn_aos_segmented_loopsILj256EiaaffEEvlT0_NS_24const_host_device_scalarIT4_EEPKS1_PKT1_PKT2_PT3_PS1_PS3_21rocsparse_index_base_b,comdat
	.globl	_ZN9rocsparseL26coomvn_aos_segmented_loopsILj256EiaaffEEvlT0_NS_24const_host_device_scalarIT4_EEPKS1_PKT1_PKT2_PT3_PS1_PS3_21rocsparse_index_base_b ; -- Begin function _ZN9rocsparseL26coomvn_aos_segmented_loopsILj256EiaaffEEvlT0_NS_24const_host_device_scalarIT4_EEPKS1_PKT1_PKT2_PT3_PS1_PS3_21rocsparse_index_base_b
	.p2align	8
	.type	_ZN9rocsparseL26coomvn_aos_segmented_loopsILj256EiaaffEEvlT0_NS_24const_host_device_scalarIT4_EEPKS1_PKT1_PKT2_PT3_PS1_PS3_21rocsparse_index_base_b,@function
_ZN9rocsparseL26coomvn_aos_segmented_loopsILj256EiaaffEEvlT0_NS_24const_host_device_scalarIT4_EEPKS1_PKT1_PKT2_PT3_PS1_PS3_21rocsparse_index_base_b: ; @_ZN9rocsparseL26coomvn_aos_segmented_loopsILj256EiaaffEEvlT0_NS_24const_host_device_scalarIT4_EEPKS1_PKT1_PKT2_PT3_PS1_PS3_21rocsparse_index_base_b
; %bb.0:
	s_clause 0x1
	s_load_b64 s[24:25], s[0:1], 0x48
	s_load_b64 s[20:21], s[0:1], 0x10
	s_mov_b32 s22, s15
	s_waitcnt lgkmcnt(0)
	s_bitcmp1_b32 s25, 0
	s_cselect_b32 s2, -1, 0
	s_delay_alu instid0(SALU_CYCLE_1)
	s_and_b32 vcc_lo, exec_lo, s2
	s_cbranch_vccnz .LBB42_2
; %bb.1:
	s_load_b32 s20, s[20:21], 0x0
.LBB42_2:
	s_waitcnt lgkmcnt(0)
	v_cmp_eq_f32_e64 s2, s20, 0
	s_delay_alu instid0(VALU_DEP_1)
	s_and_b32 vcc_lo, exec_lo, s2
	s_cbranch_vccnz .LBB42_89
; %bb.3:
	s_clause 0x3
	s_load_b32 s21, s[0:1], 0x8
	s_load_b64 s[26:27], s[0:1], 0x0
	s_load_b128 s[16:19], s[0:1], 0x18
	s_load_b64 s[30:31], s[0:1], 0x28
	v_dual_mov_b32 v2, 0 :: v_dual_mov_b32 v3, -1
	s_waitcnt lgkmcnt(0)
	s_mul_i32 s2, s22, s21
	s_delay_alu instid0(SALU_CYCLE_1) | instskip(SKIP_1) | instid1(VALU_DEP_1)
	v_lshl_or_b32 v1, s2, 8, v0
	s_mov_b32 s2, exec_lo
	v_lshlrev_b64 v[5:6], 3, v[1:2]
	v_cmpx_gt_i64_e64 s[26:27], v[1:2]
	s_cbranch_execz .LBB42_5
; %bb.4:
	s_delay_alu instid0(VALU_DEP_2) | instskip(NEXT) | instid1(VALU_DEP_3)
	v_add_co_u32 v2, vcc_lo, s16, v5
	v_add_co_ci_u32_e32 v3, vcc_lo, s17, v6, vcc_lo
	global_load_b64 v[2:3], v[2:3], off slc dlc
	s_waitcnt vmcnt(0)
	v_mov_b32_e32 v8, v3
	v_ashrrev_i32_e32 v7, 31, v3
	v_add_co_u32 v3, s3, s18, v1
	s_delay_alu instid0(VALU_DEP_1) | instskip(NEXT) | instid1(VALU_DEP_4)
	v_add_co_ci_u32_e64 v4, null, s19, 0, s3
	v_add_co_u32 v8, vcc_lo, s30, v8
	s_delay_alu instid0(VALU_DEP_4) | instskip(SKIP_1) | instid1(VALU_DEP_2)
	v_add_co_ci_u32_e32 v9, vcc_lo, s31, v7, vcc_lo
	s_ashr_i32 s3, s24, 31
	v_sub_co_u32 v7, vcc_lo, v8, s24
	s_delay_alu instid0(VALU_DEP_2)
	v_subrev_co_ci_u32_e32 v8, vcc_lo, s3, v9, vcc_lo
	global_load_i8 v3, v[3:4], off slc dlc
	global_load_i8 v4, v[7:8], off
	s_waitcnt vmcnt(1)
	v_cvt_f32_i32_e32 v7, v3
	s_waitcnt vmcnt(0)
	v_cvt_f32_i32_e32 v4, v4
	v_subrev_nc_u32_e32 v3, s24, v2
	s_delay_alu instid0(VALU_DEP_2)
	v_mul_f32_e32 v2, v7, v4
.LBB42_5:
	s_or_b32 exec_lo, exec_lo, s2
	v_lshlrev_b32_e32 v9, 2, v0
	v_cmp_eq_u32_e32 vcc_lo, 0, v0
	v_cmp_ne_u32_e64 s2, 0, v0
	s_delay_alu instid0(VALU_DEP_3)
	v_or_b32_e32 v10, 0x400, v9
	v_add_nc_u32_e32 v11, -4, v9
	ds_store_2addr_stride64_b32 v9, v3, v2 offset1:4
	s_waitcnt lgkmcnt(0)
	s_barrier
	buffer_gl0_inv
	s_and_saveexec_b32 s4, s2
	s_cbranch_execz .LBB42_9
; %bb.6:
	ds_load_b32 v4, v11
	s_mov_b32 s5, exec_lo
	s_waitcnt lgkmcnt(0)
	v_cmpx_eq_u32_e64 v3, v4
	s_cbranch_execz .LBB42_8
; %bb.7:
	v_add_nc_u32_e32 v4, -4, v10
	ds_load_b32 v4, v4
	s_waitcnt lgkmcnt(0)
	v_add_f32_e32 v2, v2, v4
.LBB42_8:
	s_or_b32 exec_lo, exec_lo, s5
.LBB42_9:
	s_delay_alu instid0(SALU_CYCLE_1)
	s_or_b32 exec_lo, exec_lo, s4
	v_cmp_lt_u32_e64 s3, 1, v0
	v_add_nc_u32_e32 v12, -8, v9
	s_barrier
	buffer_gl0_inv
	ds_store_b32 v10, v2
	s_waitcnt lgkmcnt(0)
	s_barrier
	buffer_gl0_inv
	s_and_saveexec_b32 s5, s3
	s_cbranch_execz .LBB42_13
; %bb.10:
	ds_load_b32 v4, v12
	s_mov_b32 s6, exec_lo
	s_waitcnt lgkmcnt(0)
	v_cmpx_eq_u32_e64 v3, v4
	s_cbranch_execz .LBB42_12
; %bb.11:
	v_add_nc_u32_e32 v4, -8, v10
	ds_load_b32 v4, v4
	s_waitcnt lgkmcnt(0)
	v_add_f32_e32 v2, v2, v4
.LBB42_12:
	s_or_b32 exec_lo, exec_lo, s6
.LBB42_13:
	s_delay_alu instid0(SALU_CYCLE_1)
	s_or_b32 exec_lo, exec_lo, s5
	v_cmp_lt_u32_e64 s4, 3, v0
	v_add_nc_u32_e32 v13, -16, v9
	s_barrier
	buffer_gl0_inv
	ds_store_b32 v10, v2
	s_waitcnt lgkmcnt(0)
	s_barrier
	buffer_gl0_inv
	s_and_saveexec_b32 s6, s4
	s_cbranch_execz .LBB42_17
; %bb.14:
	ds_load_b32 v4, v13
	s_mov_b32 s7, exec_lo
	s_waitcnt lgkmcnt(0)
	v_cmpx_eq_u32_e64 v3, v4
	s_cbranch_execz .LBB42_16
; %bb.15:
	v_add_nc_u32_e32 v4, -16, v10
	ds_load_b32 v4, v4
	s_waitcnt lgkmcnt(0)
	v_add_f32_e32 v2, v2, v4
.LBB42_16:
	s_or_b32 exec_lo, exec_lo, s7
.LBB42_17:
	s_delay_alu instid0(SALU_CYCLE_1)
	s_or_b32 exec_lo, exec_lo, s6
	v_cmp_lt_u32_e64 s5, 7, v0
	v_subrev_nc_u32_e32 v14, 32, v9
	s_barrier
	buffer_gl0_inv
	ds_store_b32 v10, v2
	s_waitcnt lgkmcnt(0)
	s_barrier
	buffer_gl0_inv
	s_and_saveexec_b32 s7, s5
	s_cbranch_execz .LBB42_21
; %bb.18:
	ds_load_b32 v4, v14
	s_mov_b32 s8, exec_lo
	s_waitcnt lgkmcnt(0)
	v_cmpx_eq_u32_e64 v3, v4
	s_cbranch_execz .LBB42_20
; %bb.19:
	v_subrev_nc_u32_e32 v4, 32, v10
	ds_load_b32 v4, v4
	s_waitcnt lgkmcnt(0)
	v_add_f32_e32 v2, v2, v4
.LBB42_20:
	s_or_b32 exec_lo, exec_lo, s8
.LBB42_21:
	s_delay_alu instid0(SALU_CYCLE_1)
	s_or_b32 exec_lo, exec_lo, s7
	v_cmp_lt_u32_e64 s6, 15, v0
	v_subrev_nc_u32_e32 v15, 64, v9
	s_barrier
	buffer_gl0_inv
	ds_store_b32 v10, v2
	s_waitcnt lgkmcnt(0)
	s_barrier
	buffer_gl0_inv
	s_and_saveexec_b32 s8, s6
	s_cbranch_execz .LBB42_25
; %bb.22:
	ds_load_b32 v4, v15
	s_mov_b32 s9, exec_lo
	s_waitcnt lgkmcnt(0)
	v_cmpx_eq_u32_e64 v3, v4
	s_cbranch_execz .LBB42_24
; %bb.23:
	v_subrev_nc_u32_e32 v4, 64, v10
	ds_load_b32 v4, v4
	s_waitcnt lgkmcnt(0)
	v_add_f32_e32 v2, v2, v4
.LBB42_24:
	s_or_b32 exec_lo, exec_lo, s9
.LBB42_25:
	s_delay_alu instid0(SALU_CYCLE_1)
	s_or_b32 exec_lo, exec_lo, s8
	v_cmp_lt_u32_e64 s7, 31, v0
	v_add_nc_u32_e32 v16, 0xffffff80, v9
	s_barrier
	buffer_gl0_inv
	ds_store_b32 v10, v2
	s_waitcnt lgkmcnt(0)
	s_barrier
	buffer_gl0_inv
	s_and_saveexec_b32 s9, s7
	s_cbranch_execz .LBB42_29
; %bb.26:
	ds_load_b32 v4, v16
	s_mov_b32 s10, exec_lo
	s_waitcnt lgkmcnt(0)
	v_cmpx_eq_u32_e64 v3, v4
	s_cbranch_execz .LBB42_28
; %bb.27:
	v_add_nc_u32_e32 v4, 0xffffff80, v10
	ds_load_b32 v4, v4
	s_waitcnt lgkmcnt(0)
	v_add_f32_e32 v2, v2, v4
.LBB42_28:
	s_or_b32 exec_lo, exec_lo, s10
.LBB42_29:
	s_delay_alu instid0(SALU_CYCLE_1)
	s_or_b32 exec_lo, exec_lo, s9
	v_cmp_lt_u32_e64 s8, 63, v0
	v_add_nc_u32_e32 v17, 0xffffff00, v9
	s_barrier
	buffer_gl0_inv
	ds_store_b32 v10, v2
	s_waitcnt lgkmcnt(0)
	s_barrier
	buffer_gl0_inv
	s_and_saveexec_b32 s10, s8
	s_cbranch_execz .LBB42_33
; %bb.30:
	ds_load_b32 v4, v17
	s_mov_b32 s11, exec_lo
	s_waitcnt lgkmcnt(0)
	v_cmpx_eq_u32_e64 v3, v4
	s_cbranch_execz .LBB42_32
; %bb.31:
	v_add_nc_u32_e32 v4, 0xffffff00, v10
	ds_load_b32 v4, v4
	s_waitcnt lgkmcnt(0)
	v_add_f32_e32 v2, v2, v4
.LBB42_32:
	s_or_b32 exec_lo, exec_lo, s11
.LBB42_33:
	s_delay_alu instid0(SALU_CYCLE_1)
	s_or_b32 exec_lo, exec_lo, s10
	s_load_b64 s[28:29], s[0:1], 0x30
	v_cmp_lt_u32_e64 s9, 0x7f, v0
	v_add_nc_u32_e32 v18, 0xfffffe00, v9
	s_waitcnt lgkmcnt(0)
	s_barrier
	buffer_gl0_inv
	ds_store_b32 v10, v2
	s_waitcnt lgkmcnt(0)
	s_barrier
	buffer_gl0_inv
	s_and_saveexec_b32 s11, s9
	s_cbranch_execz .LBB42_37
; %bb.34:
	ds_load_b32 v4, v18
	s_mov_b32 s12, exec_lo
	s_waitcnt lgkmcnt(0)
	v_cmpx_eq_u32_e64 v3, v4
	s_cbranch_execz .LBB42_36
; %bb.35:
	v_add_nc_u32_e32 v4, 0xfffffe00, v10
	ds_load_b32 v4, v4
	s_waitcnt lgkmcnt(0)
	v_add_f32_e32 v2, v2, v4
.LBB42_36:
	s_or_b32 exec_lo, exec_lo, s12
.LBB42_37:
	s_delay_alu instid0(SALU_CYCLE_1)
	s_or_b32 exec_lo, exec_lo, s11
	v_cmp_gt_u32_e64 s10, 0xff, v0
	s_barrier
	buffer_gl0_inv
	ds_store_b32 v10, v2
	s_waitcnt lgkmcnt(0)
	s_barrier
	buffer_gl0_inv
	s_and_saveexec_b32 s13, s10
	s_cbranch_execz .LBB42_40
; %bb.38:
	ds_load_b32 v4, v9 offset:4
	v_cmp_lt_i32_e64 s12, -1, v3
	s_waitcnt lgkmcnt(0)
	v_cmp_ne_u32_e64 s11, v3, v4
	s_delay_alu instid0(VALU_DEP_1) | instskip(NEXT) | instid1(SALU_CYCLE_1)
	s_and_b32 s11, s12, s11
	s_and_b32 exec_lo, exec_lo, s11
	s_cbranch_execz .LBB42_40
; %bb.39:
	v_mov_b32_e32 v4, 0
	s_delay_alu instid0(VALU_DEP_1) | instskip(NEXT) | instid1(VALU_DEP_1)
	v_lshlrev_b64 v[7:8], 2, v[3:4]
	v_add_co_u32 v7, s11, s28, v7
	s_delay_alu instid0(VALU_DEP_1)
	v_add_co_ci_u32_e64 v8, s11, s29, v8, s11
	global_load_b32 v4, v[7:8], off
	s_waitcnt vmcnt(0)
	v_fmac_f32_e32 v4, s20, v2
	global_store_b32 v[7:8], v4, off
.LBB42_40:
	s_or_b32 exec_lo, exec_lo, s13
	s_load_b128 s[12:15], s[0:1], 0x38
	s_cmp_lt_i32 s21, 2
	s_cbranch_scc1 .LBB42_87
; %bb.41:
	v_add_co_u32 v2, s0, v5, s16
	s_delay_alu instid0(VALU_DEP_1) | instskip(SKIP_1) | instid1(VALU_DEP_1)
	v_add_co_ci_u32_e64 v3, s0, s17, v6, s0
	v_add_co_u32 v5, s0, 0x100, v1
	v_add_co_ci_u32_e64 v6, null, 0, 0, s0
	s_delay_alu instid0(VALU_DEP_4)
	v_add_co_u32 v7, s0, 0x800, v2
	v_dual_mov_b32 v4, 0 :: v_dual_add_nc_u32 v19, -4, v10
	v_add_nc_u32_e32 v20, -8, v10
	v_add_nc_u32_e32 v21, -16, v10
	v_subrev_nc_u32_e32 v22, 32, v10
	v_subrev_nc_u32_e32 v23, 64, v10
	v_add_nc_u32_e32 v24, 0xffffff80, v10
	v_add_nc_u32_e32 v25, 0xffffff00, v10
	;; [unrolled: 1-line block ×3, first 2 shown]
	v_add_co_ci_u32_e64 v8, s0, 0, v3, s0
	s_ashr_i32 s1, s24, 31
	s_sub_u32 s11, s30, s24
	s_subb_u32 s23, s31, s1
	s_add_i32 s21, s21, -1
	s_mov_b32 s17, 0
	s_branch .LBB42_43
.LBB42_42:                              ;   in Loop: Header=BB42_43 Depth=1
	s_or_b32 exec_lo, exec_lo, s16
	v_add_co_u32 v5, s0, 0x100, v5
	s_delay_alu instid0(VALU_DEP_1) | instskip(SKIP_1) | instid1(VALU_DEP_1)
	v_add_co_ci_u32_e64 v6, s0, 0, v6, s0
	v_add_co_u32 v7, s0, 0x800, v7
	v_add_co_ci_u32_e64 v8, s0, 0, v8, s0
	s_add_i32 s21, s21, -1
	s_delay_alu instid0(SALU_CYCLE_1)
	s_cmp_eq_u32 s21, 0
	s_cbranch_scc1 .LBB42_87
.LBB42_43:                              ; =>This Inner Loop Header: Depth=1
	v_dual_mov_b32 v3, -1 :: v_dual_mov_b32 v2, 0
	s_mov_b32 s1, exec_lo
	v_cmpx_gt_i64_e64 s[26:27], v[5:6]
	s_cbranch_execz .LBB42_45
; %bb.44:                               ;   in Loop: Header=BB42_43 Depth=1
	global_load_b64 v[1:2], v[7:8], off slc dlc
	s_waitcnt vmcnt(0)
	v_mov_b32_e32 v27, v2
	v_ashrrev_i32_e32 v28, 31, v2
	v_add_co_u32 v2, s0, s18, v5
	s_delay_alu instid0(VALU_DEP_1) | instskip(NEXT) | instid1(VALU_DEP_4)
	v_add_co_ci_u32_e64 v3, s0, s19, v6, s0
	v_add_co_u32 v27, s0, s11, v27
	s_delay_alu instid0(VALU_DEP_1)
	v_add_co_ci_u32_e64 v28, s0, s23, v28, s0
	global_load_i8 v2, v[2:3], off slc dlc
	global_load_i8 v3, v[27:28], off
	s_waitcnt vmcnt(1)
	v_cvt_f32_i32_e32 v2, v2
	s_waitcnt vmcnt(0)
	v_cvt_f32_i32_e32 v27, v3
	v_subrev_nc_u32_e32 v3, s24, v1
	s_delay_alu instid0(VALU_DEP_2)
	v_mul_f32_e32 v2, v2, v27
.LBB42_45:                              ;   in Loop: Header=BB42_43 Depth=1
	s_or_b32 exec_lo, exec_lo, s1
	s_and_saveexec_b32 s1, vcc_lo
	s_cbranch_execz .LBB42_52
; %bb.46:                               ;   in Loop: Header=BB42_43 Depth=1
	ds_load_b32 v1, v4 offset:1020
	s_waitcnt lgkmcnt(0)
	v_readfirstlane_b32 s16, v1
	v_cmp_ne_u32_e64 s0, v3, v1
	s_delay_alu instid0(VALU_DEP_1) | instskip(NEXT) | instid1(SALU_CYCLE_1)
	s_and_saveexec_b32 s25, s0
	s_xor_b32 s0, exec_lo, s25
	s_cbranch_execz .LBB42_49
; %bb.47:                               ;   in Loop: Header=BB42_43 Depth=1
	s_cmp_lt_i32 s16, 0
	s_cbranch_scc1 .LBB42_49
; %bb.48:                               ;   in Loop: Header=BB42_43 Depth=1
	s_lshl_b64 s[30:31], s[16:17], 2
	ds_load_b32 v27, v4 offset:2044
	s_add_u32 s30, s28, s30
	s_addc_u32 s31, s29, s31
	global_load_b32 v1, v4, s[30:31]
	s_waitcnt vmcnt(0) lgkmcnt(0)
	v_fmac_f32_e32 v1, s20, v27
	global_store_b32 v4, v1, s[30:31]
.LBB42_49:                              ;   in Loop: Header=BB42_43 Depth=1
	s_and_not1_saveexec_b32 s0, s0
	s_cbranch_execz .LBB42_51
; %bb.50:                               ;   in Loop: Header=BB42_43 Depth=1
	ds_load_b32 v1, v4 offset:2044
	s_waitcnt lgkmcnt(0)
	v_add_f32_e32 v2, v2, v1
.LBB42_51:                              ;   in Loop: Header=BB42_43 Depth=1
	s_or_b32 exec_lo, exec_lo, s0
.LBB42_52:                              ;   in Loop: Header=BB42_43 Depth=1
	s_delay_alu instid0(SALU_CYCLE_1)
	s_or_b32 exec_lo, exec_lo, s1
	s_waitcnt lgkmcnt(0)
	s_waitcnt_vscnt null, 0x0
	s_barrier
	buffer_gl0_inv
	ds_store_b32 v9, v3
	ds_store_b32 v10, v2
	s_waitcnt lgkmcnt(0)
	s_barrier
	buffer_gl0_inv
	s_and_saveexec_b32 s1, s2
	s_cbranch_execz .LBB42_56
; %bb.53:                               ;   in Loop: Header=BB42_43 Depth=1
	ds_load_b32 v1, v11
	s_mov_b32 s16, exec_lo
	s_waitcnt lgkmcnt(0)
	v_cmpx_eq_u32_e64 v3, v1
	s_cbranch_execz .LBB42_55
; %bb.54:                               ;   in Loop: Header=BB42_43 Depth=1
	ds_load_b32 v1, v19
	s_waitcnt lgkmcnt(0)
	v_add_f32_e32 v2, v2, v1
.LBB42_55:                              ;   in Loop: Header=BB42_43 Depth=1
	s_or_b32 exec_lo, exec_lo, s16
.LBB42_56:                              ;   in Loop: Header=BB42_43 Depth=1
	s_delay_alu instid0(SALU_CYCLE_1)
	s_or_b32 exec_lo, exec_lo, s1
	s_barrier
	buffer_gl0_inv
	ds_store_b32 v10, v2
	s_waitcnt lgkmcnt(0)
	s_barrier
	buffer_gl0_inv
	s_and_saveexec_b32 s1, s3
	s_cbranch_execz .LBB42_60
; %bb.57:                               ;   in Loop: Header=BB42_43 Depth=1
	ds_load_b32 v1, v12
	s_mov_b32 s16, exec_lo
	s_waitcnt lgkmcnt(0)
	v_cmpx_eq_u32_e64 v3, v1
	s_cbranch_execz .LBB42_59
; %bb.58:                               ;   in Loop: Header=BB42_43 Depth=1
	ds_load_b32 v1, v20
	s_waitcnt lgkmcnt(0)
	v_add_f32_e32 v2, v2, v1
.LBB42_59:                              ;   in Loop: Header=BB42_43 Depth=1
	s_or_b32 exec_lo, exec_lo, s16
.LBB42_60:                              ;   in Loop: Header=BB42_43 Depth=1
	s_delay_alu instid0(SALU_CYCLE_1)
	s_or_b32 exec_lo, exec_lo, s1
	s_barrier
	buffer_gl0_inv
	;; [unrolled: 23-line block ×8, first 2 shown]
	ds_store_b32 v10, v2
	s_waitcnt lgkmcnt(0)
	s_barrier
	buffer_gl0_inv
	s_and_saveexec_b32 s16, s10
	s_cbranch_execz .LBB42_42
; %bb.85:                               ;   in Loop: Header=BB42_43 Depth=1
	ds_load_b32 v1, v9 offset:4
	v_cmp_lt_i32_e64 s1, -1, v3
	s_waitcnt lgkmcnt(0)
	v_cmp_ne_u32_e64 s0, v3, v1
	s_delay_alu instid0(VALU_DEP_1) | instskip(NEXT) | instid1(SALU_CYCLE_1)
	s_and_b32 s0, s1, s0
	s_and_b32 exec_lo, exec_lo, s0
	s_cbranch_execz .LBB42_42
; %bb.86:                               ;   in Loop: Header=BB42_43 Depth=1
	v_lshlrev_b64 v[27:28], 2, v[3:4]
	s_delay_alu instid0(VALU_DEP_1) | instskip(NEXT) | instid1(VALU_DEP_1)
	v_add_co_u32 v27, s0, s28, v27
	v_add_co_ci_u32_e64 v28, s0, s29, v28, s0
	global_load_b32 v1, v[27:28], off
	s_waitcnt vmcnt(0)
	v_fmac_f32_e32 v1, s20, v2
	global_store_b32 v[27:28], v1, off
	s_branch .LBB42_42
.LBB42_87:
	s_mov_b32 s0, exec_lo
	v_cmpx_eq_u32_e32 0xff, v0
	s_cbranch_execz .LBB42_89
; %bb.88:
	s_mov_b32 s23, 0
	v_dual_mov_b32 v0, 0 :: v_dual_mul_f32 v1, s20, v2
	s_lshl_b64 s[0:1], s[22:23], 2
	s_waitcnt lgkmcnt(0)
	s_add_u32 s2, s12, s0
	s_addc_u32 s3, s13, s1
	s_add_u32 s0, s14, s0
	s_addc_u32 s1, s15, s1
	s_clause 0x1
	global_store_b32 v0, v3, s[2:3] glc slc dlc
	global_store_b32 v0, v1, s[0:1] glc slc dlc
.LBB42_89:
	s_nop 0
	s_sendmsg sendmsg(MSG_DEALLOC_VGPRS)
	s_endpgm
	.section	.rodata,"a",@progbits
	.p2align	6, 0x0
	.amdhsa_kernel _ZN9rocsparseL26coomvn_aos_segmented_loopsILj256EiaaffEEvlT0_NS_24const_host_device_scalarIT4_EEPKS1_PKT1_PKT2_PT3_PS1_PS3_21rocsparse_index_base_b
		.amdhsa_group_segment_fixed_size 2048
		.amdhsa_private_segment_fixed_size 0
		.amdhsa_kernarg_size 80
		.amdhsa_user_sgpr_count 15
		.amdhsa_user_sgpr_dispatch_ptr 0
		.amdhsa_user_sgpr_queue_ptr 0
		.amdhsa_user_sgpr_kernarg_segment_ptr 1
		.amdhsa_user_sgpr_dispatch_id 0
		.amdhsa_user_sgpr_private_segment_size 0
		.amdhsa_wavefront_size32 1
		.amdhsa_uses_dynamic_stack 0
		.amdhsa_enable_private_segment 0
		.amdhsa_system_sgpr_workgroup_id_x 1
		.amdhsa_system_sgpr_workgroup_id_y 0
		.amdhsa_system_sgpr_workgroup_id_z 0
		.amdhsa_system_sgpr_workgroup_info 0
		.amdhsa_system_vgpr_workitem_id 0
		.amdhsa_next_free_vgpr 29
		.amdhsa_next_free_sgpr 32
		.amdhsa_reserve_vcc 1
		.amdhsa_float_round_mode_32 0
		.amdhsa_float_round_mode_16_64 0
		.amdhsa_float_denorm_mode_32 3
		.amdhsa_float_denorm_mode_16_64 3
		.amdhsa_dx10_clamp 1
		.amdhsa_ieee_mode 1
		.amdhsa_fp16_overflow 0
		.amdhsa_workgroup_processor_mode 1
		.amdhsa_memory_ordered 1
		.amdhsa_forward_progress 0
		.amdhsa_shared_vgpr_count 0
		.amdhsa_exception_fp_ieee_invalid_op 0
		.amdhsa_exception_fp_denorm_src 0
		.amdhsa_exception_fp_ieee_div_zero 0
		.amdhsa_exception_fp_ieee_overflow 0
		.amdhsa_exception_fp_ieee_underflow 0
		.amdhsa_exception_fp_ieee_inexact 0
		.amdhsa_exception_int_div_zero 0
	.end_amdhsa_kernel
	.section	.text._ZN9rocsparseL26coomvn_aos_segmented_loopsILj256EiaaffEEvlT0_NS_24const_host_device_scalarIT4_EEPKS1_PKT1_PKT2_PT3_PS1_PS3_21rocsparse_index_base_b,"axG",@progbits,_ZN9rocsparseL26coomvn_aos_segmented_loopsILj256EiaaffEEvlT0_NS_24const_host_device_scalarIT4_EEPKS1_PKT1_PKT2_PT3_PS1_PS3_21rocsparse_index_base_b,comdat
.Lfunc_end42:
	.size	_ZN9rocsparseL26coomvn_aos_segmented_loopsILj256EiaaffEEvlT0_NS_24const_host_device_scalarIT4_EEPKS1_PKT1_PKT2_PT3_PS1_PS3_21rocsparse_index_base_b, .Lfunc_end42-_ZN9rocsparseL26coomvn_aos_segmented_loopsILj256EiaaffEEvlT0_NS_24const_host_device_scalarIT4_EEPKS1_PKT1_PKT2_PT3_PS1_PS3_21rocsparse_index_base_b
                                        ; -- End function
	.section	.AMDGPU.csdata,"",@progbits
; Kernel info:
; codeLenInByte = 2976
; NumSgprs: 34
; NumVgprs: 29
; ScratchSize: 0
; MemoryBound: 0
; FloatMode: 240
; IeeeMode: 1
; LDSByteSize: 2048 bytes/workgroup (compile time only)
; SGPRBlocks: 4
; VGPRBlocks: 3
; NumSGPRsForWavesPerEU: 34
; NumVGPRsForWavesPerEU: 29
; Occupancy: 16
; WaveLimiterHint : 1
; COMPUTE_PGM_RSRC2:SCRATCH_EN: 0
; COMPUTE_PGM_RSRC2:USER_SGPR: 15
; COMPUTE_PGM_RSRC2:TRAP_HANDLER: 0
; COMPUTE_PGM_RSRC2:TGID_X_EN: 1
; COMPUTE_PGM_RSRC2:TGID_Y_EN: 0
; COMPUTE_PGM_RSRC2:TGID_Z_EN: 0
; COMPUTE_PGM_RSRC2:TIDIG_COMP_CNT: 0
	.section	.text._ZN9rocsparseL23coomvn_aos_atomic_loopsILj256ELj1ElaaffEEvlNS_24const_host_device_scalarIT5_EEPKT1_PKT2_PKT3_PT4_21rocsparse_index_base_b,"axG",@progbits,_ZN9rocsparseL23coomvn_aos_atomic_loopsILj256ELj1ElaaffEEvlNS_24const_host_device_scalarIT5_EEPKT1_PKT2_PKT3_PT4_21rocsparse_index_base_b,comdat
	.globl	_ZN9rocsparseL23coomvn_aos_atomic_loopsILj256ELj1ElaaffEEvlNS_24const_host_device_scalarIT5_EEPKT1_PKT2_PKT3_PT4_21rocsparse_index_base_b ; -- Begin function _ZN9rocsparseL23coomvn_aos_atomic_loopsILj256ELj1ElaaffEEvlNS_24const_host_device_scalarIT5_EEPKT1_PKT2_PKT3_PT4_21rocsparse_index_base_b
	.p2align	8
	.type	_ZN9rocsparseL23coomvn_aos_atomic_loopsILj256ELj1ElaaffEEvlNS_24const_host_device_scalarIT5_EEPKT1_PKT2_PKT3_PT4_21rocsparse_index_base_b,@function
_ZN9rocsparseL23coomvn_aos_atomic_loopsILj256ELj1ElaaffEEvlNS_24const_host_device_scalarIT5_EEPKT1_PKT2_PKT3_PT4_21rocsparse_index_base_b: ; @_ZN9rocsparseL23coomvn_aos_atomic_loopsILj256ELj1ElaaffEEvlNS_24const_host_device_scalarIT5_EEPKT1_PKT2_PKT3_PT4_21rocsparse_index_base_b
; %bb.0:
	s_clause 0x1
	s_load_b64 s[2:3], s[0:1], 0x30
	s_load_b128 s[4:7], s[0:1], 0x0
	s_waitcnt lgkmcnt(0)
	s_bitcmp1_b32 s3, 0
	s_cselect_b32 s3, -1, 0
	s_delay_alu instid0(SALU_CYCLE_1)
	s_and_b32 vcc_lo, exec_lo, s3
	s_cbranch_vccnz .LBB43_2
; %bb.1:
	s_load_b32 s6, s[6:7], 0x0
.LBB43_2:
	s_waitcnt lgkmcnt(0)
	v_cmp_eq_f32_e64 s3, s6, 0
	s_delay_alu instid0(VALU_DEP_1)
	s_and_b32 vcc_lo, exec_lo, s3
	s_cbranch_vccnz .LBB43_44
; %bb.3:
	v_dual_mov_b32 v2, 0 :: v_dual_mov_b32 v3, -1
	v_lshl_or_b32 v1, s15, 8, v0
	v_mov_b32_e32 v4, -1
	s_mov_b32 s3, exec_lo
	s_delay_alu instid0(VALU_DEP_2)
	v_cmpx_gt_i64_e64 s[4:5], v[1:2]
	s_cbranch_execz .LBB43_5
; %bb.4:
	s_clause 0x1
	s_load_b128 s[8:11], s[0:1], 0x10
	s_load_b64 s[4:5], s[0:1], 0x20
	v_lshlrev_b64 v[2:3], 4, v[1:2]
	s_waitcnt lgkmcnt(0)
	s_delay_alu instid0(VALU_DEP_1) | instskip(NEXT) | instid1(VALU_DEP_2)
	v_add_co_u32 v2, vcc_lo, s8, v2
	v_add_co_ci_u32_e32 v3, vcc_lo, s9, v3, vcc_lo
	v_add_co_u32 v1, s7, s10, v1
	global_load_b128 v[3:6], v[2:3], off slc dlc
	v_add_co_ci_u32_e64 v2, null, s11, 0, s7
	s_waitcnt vmcnt(0)
	v_sub_co_u32 v5, vcc_lo, v5, s2
	v_subrev_co_ci_u32_e32 v6, vcc_lo, 0, v6, vcc_lo
	s_delay_alu instid0(VALU_DEP_2) | instskip(NEXT) | instid1(VALU_DEP_2)
	v_add_co_u32 v5, vcc_lo, s4, v5
	v_add_co_ci_u32_e32 v6, vcc_lo, s5, v6, vcc_lo
	v_sub_co_u32 v3, vcc_lo, v3, s2
	global_load_i8 v1, v[1:2], off slc dlc
	global_load_i8 v2, v[5:6], off
	v_subrev_co_ci_u32_e32 v4, vcc_lo, 0, v4, vcc_lo
	s_waitcnt vmcnt(1)
	v_cvt_f32_i32_e32 v1, v1
	s_waitcnt vmcnt(0)
	v_cvt_f32_i32_e32 v2, v2
	s_delay_alu instid0(VALU_DEP_1)
	v_mul_f32_e32 v2, v1, v2
.LBB43_5:
	s_or_b32 exec_lo, exec_lo, s3
	v_lshlrev_b32_e32 v6, 2, v0
	v_lshlrev_b32_e32 v1, 3, v0
	s_mov_b32 s2, exec_lo
	ds_store_b64 v1, v[3:4]
	ds_store_b32 v6, v2 offset:2048
	v_or_b32_e32 v5, 0x800, v6
	s_waitcnt lgkmcnt(0)
	s_barrier
	buffer_gl0_inv
	v_cmpx_ne_u32_e32 0, v0
	s_cbranch_execz .LBB43_9
; %bb.6:
	v_add_nc_u32_e32 v6, -8, v1
	s_mov_b32 s3, exec_lo
	ds_load_b64 v[6:7], v6
	s_waitcnt lgkmcnt(0)
	v_cmpx_eq_u64_e64 v[3:4], v[6:7]
	s_cbranch_execz .LBB43_8
; %bb.7:
	v_add_nc_u32_e32 v6, -4, v5
	ds_load_b32 v6, v6
	s_waitcnt lgkmcnt(0)
	v_add_f32_e32 v2, v2, v6
.LBB43_8:
	s_or_b32 exec_lo, exec_lo, s3
.LBB43_9:
	s_delay_alu instid0(SALU_CYCLE_1) | instskip(NEXT) | instid1(SALU_CYCLE_1)
	s_or_b32 exec_lo, exec_lo, s2
	s_mov_b32 s2, exec_lo
	s_barrier
	buffer_gl0_inv
	ds_store_b32 v5, v2
	s_waitcnt lgkmcnt(0)
	s_barrier
	buffer_gl0_inv
	v_cmpx_lt_u32_e32 1, v0
	s_cbranch_execz .LBB43_13
; %bb.10:
	v_add_nc_u32_e32 v6, -16, v1
	s_mov_b32 s3, exec_lo
	ds_load_b64 v[6:7], v6
	s_waitcnt lgkmcnt(0)
	v_cmpx_eq_u64_e64 v[3:4], v[6:7]
	s_cbranch_execz .LBB43_12
; %bb.11:
	v_add_nc_u32_e32 v6, -8, v5
	ds_load_b32 v6, v6
	s_waitcnt lgkmcnt(0)
	v_add_f32_e32 v2, v2, v6
.LBB43_12:
	s_or_b32 exec_lo, exec_lo, s3
.LBB43_13:
	s_delay_alu instid0(SALU_CYCLE_1) | instskip(NEXT) | instid1(SALU_CYCLE_1)
	s_or_b32 exec_lo, exec_lo, s2
	s_mov_b32 s2, exec_lo
	s_barrier
	buffer_gl0_inv
	ds_store_b32 v5, v2
	s_waitcnt lgkmcnt(0)
	s_barrier
	buffer_gl0_inv
	v_cmpx_lt_u32_e32 3, v0
	s_cbranch_execz .LBB43_17
; %bb.14:
	v_subrev_nc_u32_e32 v6, 32, v1
	s_mov_b32 s3, exec_lo
	ds_load_b64 v[6:7], v6
	s_waitcnt lgkmcnt(0)
	v_cmpx_eq_u64_e64 v[3:4], v[6:7]
	s_cbranch_execz .LBB43_16
; %bb.15:
	v_add_nc_u32_e32 v6, -16, v5
	ds_load_b32 v6, v6
	s_waitcnt lgkmcnt(0)
	v_add_f32_e32 v2, v2, v6
.LBB43_16:
	s_or_b32 exec_lo, exec_lo, s3
.LBB43_17:
	s_delay_alu instid0(SALU_CYCLE_1) | instskip(NEXT) | instid1(SALU_CYCLE_1)
	s_or_b32 exec_lo, exec_lo, s2
	s_mov_b32 s2, exec_lo
	s_barrier
	buffer_gl0_inv
	ds_store_b32 v5, v2
	s_waitcnt lgkmcnt(0)
	s_barrier
	buffer_gl0_inv
	v_cmpx_lt_u32_e32 7, v0
	s_cbranch_execz .LBB43_21
; %bb.18:
	v_subrev_nc_u32_e32 v6, 64, v1
	s_mov_b32 s3, exec_lo
	ds_load_b64 v[6:7], v6
	s_waitcnt lgkmcnt(0)
	v_cmpx_eq_u64_e64 v[3:4], v[6:7]
	s_cbranch_execz .LBB43_20
; %bb.19:
	v_subrev_nc_u32_e32 v6, 32, v5
	ds_load_b32 v6, v6
	s_waitcnt lgkmcnt(0)
	v_add_f32_e32 v2, v2, v6
.LBB43_20:
	s_or_b32 exec_lo, exec_lo, s3
.LBB43_21:
	s_delay_alu instid0(SALU_CYCLE_1) | instskip(NEXT) | instid1(SALU_CYCLE_1)
	s_or_b32 exec_lo, exec_lo, s2
	s_mov_b32 s2, exec_lo
	s_barrier
	buffer_gl0_inv
	ds_store_b32 v5, v2
	s_waitcnt lgkmcnt(0)
	s_barrier
	buffer_gl0_inv
	v_cmpx_lt_u32_e32 15, v0
	s_cbranch_execz .LBB43_25
; %bb.22:
	v_add_nc_u32_e32 v6, 0xffffff80, v1
	s_mov_b32 s3, exec_lo
	ds_load_b64 v[6:7], v6
	s_waitcnt lgkmcnt(0)
	v_cmpx_eq_u64_e64 v[3:4], v[6:7]
	s_cbranch_execz .LBB43_24
; %bb.23:
	v_subrev_nc_u32_e32 v6, 64, v5
	ds_load_b32 v6, v6
	s_waitcnt lgkmcnt(0)
	v_add_f32_e32 v2, v2, v6
.LBB43_24:
	s_or_b32 exec_lo, exec_lo, s3
.LBB43_25:
	s_delay_alu instid0(SALU_CYCLE_1) | instskip(NEXT) | instid1(SALU_CYCLE_1)
	s_or_b32 exec_lo, exec_lo, s2
	s_mov_b32 s2, exec_lo
	s_barrier
	buffer_gl0_inv
	ds_store_b32 v5, v2
	s_waitcnt lgkmcnt(0)
	s_barrier
	buffer_gl0_inv
	v_cmpx_lt_u32_e32 31, v0
	s_cbranch_execz .LBB43_29
; %bb.26:
	v_add_nc_u32_e32 v6, 0xffffff00, v1
	s_mov_b32 s3, exec_lo
	ds_load_b64 v[6:7], v6
	s_waitcnt lgkmcnt(0)
	v_cmpx_eq_u64_e64 v[3:4], v[6:7]
	s_cbranch_execz .LBB43_28
; %bb.27:
	v_add_nc_u32_e32 v6, 0xffffff80, v5
	ds_load_b32 v6, v6
	s_waitcnt lgkmcnt(0)
	v_add_f32_e32 v2, v2, v6
.LBB43_28:
	s_or_b32 exec_lo, exec_lo, s3
.LBB43_29:
	s_delay_alu instid0(SALU_CYCLE_1) | instskip(NEXT) | instid1(SALU_CYCLE_1)
	s_or_b32 exec_lo, exec_lo, s2
	s_mov_b32 s2, exec_lo
	s_barrier
	buffer_gl0_inv
	ds_store_b32 v5, v2
	s_waitcnt lgkmcnt(0)
	s_barrier
	buffer_gl0_inv
	v_cmpx_lt_u32_e32 63, v0
	s_cbranch_execz .LBB43_33
; %bb.30:
	v_add_nc_u32_e32 v6, 0xfffffe00, v1
	s_mov_b32 s3, exec_lo
	ds_load_b64 v[6:7], v6
	s_waitcnt lgkmcnt(0)
	v_cmpx_eq_u64_e64 v[3:4], v[6:7]
	s_cbranch_execz .LBB43_32
; %bb.31:
	v_add_nc_u32_e32 v6, 0xffffff00, v5
	ds_load_b32 v6, v6
	s_waitcnt lgkmcnt(0)
	v_add_f32_e32 v2, v2, v6
.LBB43_32:
	s_or_b32 exec_lo, exec_lo, s3
.LBB43_33:
	s_delay_alu instid0(SALU_CYCLE_1)
	s_or_b32 exec_lo, exec_lo, s2
	s_load_b64 s[2:3], s[0:1], 0x28
	s_mov_b32 s0, exec_lo
	s_waitcnt lgkmcnt(0)
	s_barrier
	buffer_gl0_inv
	ds_store_b32 v5, v2
	s_waitcnt lgkmcnt(0)
	s_barrier
	buffer_gl0_inv
	v_cmpx_lt_u32_e32 0x7f, v0
	s_cbranch_execz .LBB43_37
; %bb.34:
	v_add_nc_u32_e32 v6, 0xfffffc00, v1
	s_mov_b32 s1, exec_lo
	ds_load_b64 v[6:7], v6
	s_waitcnt lgkmcnt(0)
	v_cmpx_eq_u64_e64 v[3:4], v[6:7]
	s_cbranch_execz .LBB43_36
; %bb.35:
	v_add_nc_u32_e32 v6, 0xfffffe00, v5
	ds_load_b32 v6, v6
	s_waitcnt lgkmcnt(0)
	v_add_f32_e32 v2, v2, v6
.LBB43_36:
	s_or_b32 exec_lo, exec_lo, s1
.LBB43_37:
	s_delay_alu instid0(SALU_CYCLE_1) | instskip(NEXT) | instid1(SALU_CYCLE_1)
	s_or_b32 exec_lo, exec_lo, s0
	s_mov_b32 s1, exec_lo
	s_barrier
	buffer_gl0_inv
	ds_store_b32 v5, v2
	s_waitcnt lgkmcnt(0)
	s_barrier
	buffer_gl0_inv
	v_cmpx_gt_u32_e32 0xff, v0
	s_cbranch_execz .LBB43_41
; %bb.38:
	ds_load_b64 v[5:6], v1 offset:8
	v_cmp_lt_i64_e64 s0, -1, v[3:4]
	s_waitcnt lgkmcnt(0)
	v_cmp_ne_u64_e32 vcc_lo, v[3:4], v[5:6]
	s_delay_alu instid0(VALU_DEP_2) | instskip(NEXT) | instid1(SALU_CYCLE_1)
	s_and_b32 s0, s0, vcc_lo
	s_and_b32 exec_lo, exec_lo, s0
	s_cbranch_execz .LBB43_41
; %bb.39:
	v_lshlrev_b64 v[5:6], 2, v[3:4]
	v_mul_f32_e32 v1, s6, v2
	s_mov_b32 s0, 0
	s_delay_alu instid0(VALU_DEP_2) | instskip(NEXT) | instid1(VALU_DEP_3)
	v_add_co_u32 v5, vcc_lo, s2, v5
	v_add_co_ci_u32_e32 v6, vcc_lo, s3, v6, vcc_lo
	global_load_b32 v8, v[5:6], off
.LBB43_40:                              ; =>This Inner Loop Header: Depth=1
	s_waitcnt vmcnt(0)
	v_add_f32_e32 v7, v8, v1
	global_atomic_cmpswap_b32 v7, v[5:6], v[7:8], off glc
	s_waitcnt vmcnt(0)
	v_cmp_eq_u32_e32 vcc_lo, v7, v8
	v_mov_b32_e32 v8, v7
	s_or_b32 s0, vcc_lo, s0
	s_delay_alu instid0(SALU_CYCLE_1)
	s_and_not1_b32 exec_lo, exec_lo, s0
	s_cbranch_execnz .LBB43_40
.LBB43_41:
	s_or_b32 exec_lo, exec_lo, s1
	v_cmp_lt_i64_e32 vcc_lo, -1, v[3:4]
	v_cmp_eq_u32_e64 s0, 0xff, v0
	s_delay_alu instid0(VALU_DEP_1) | instskip(NEXT) | instid1(SALU_CYCLE_1)
	s_and_b32 s0, s0, vcc_lo
	s_and_saveexec_b32 s1, s0
	s_cbranch_execz .LBB43_44
; %bb.42:
	v_lshlrev_b64 v[0:1], 2, v[3:4]
	v_mul_f32_e32 v4, s6, v2
	s_mov_b32 s0, 0
	s_delay_alu instid0(VALU_DEP_2) | instskip(NEXT) | instid1(VALU_DEP_3)
	v_add_co_u32 v0, vcc_lo, s2, v0
	v_add_co_ci_u32_e32 v1, vcc_lo, s3, v1, vcc_lo
	global_load_b32 v3, v[0:1], off
.LBB43_43:                              ; =>This Inner Loop Header: Depth=1
	s_waitcnt vmcnt(0)
	v_add_f32_e32 v2, v3, v4
	global_atomic_cmpswap_b32 v2, v[0:1], v[2:3], off glc
	s_waitcnt vmcnt(0)
	v_cmp_eq_u32_e32 vcc_lo, v2, v3
	v_mov_b32_e32 v3, v2
	s_or_b32 s0, vcc_lo, s0
	s_delay_alu instid0(SALU_CYCLE_1)
	s_and_not1_b32 exec_lo, exec_lo, s0
	s_cbranch_execnz .LBB43_43
.LBB43_44:
	s_endpgm
	.section	.rodata,"a",@progbits
	.p2align	6, 0x0
	.amdhsa_kernel _ZN9rocsparseL23coomvn_aos_atomic_loopsILj256ELj1ElaaffEEvlNS_24const_host_device_scalarIT5_EEPKT1_PKT2_PKT3_PT4_21rocsparse_index_base_b
		.amdhsa_group_segment_fixed_size 3072
		.amdhsa_private_segment_fixed_size 0
		.amdhsa_kernarg_size 56
		.amdhsa_user_sgpr_count 15
		.amdhsa_user_sgpr_dispatch_ptr 0
		.amdhsa_user_sgpr_queue_ptr 0
		.amdhsa_user_sgpr_kernarg_segment_ptr 1
		.amdhsa_user_sgpr_dispatch_id 0
		.amdhsa_user_sgpr_private_segment_size 0
		.amdhsa_wavefront_size32 1
		.amdhsa_uses_dynamic_stack 0
		.amdhsa_enable_private_segment 0
		.amdhsa_system_sgpr_workgroup_id_x 1
		.amdhsa_system_sgpr_workgroup_id_y 0
		.amdhsa_system_sgpr_workgroup_id_z 0
		.amdhsa_system_sgpr_workgroup_info 0
		.amdhsa_system_vgpr_workitem_id 0
		.amdhsa_next_free_vgpr 9
		.amdhsa_next_free_sgpr 16
		.amdhsa_reserve_vcc 1
		.amdhsa_float_round_mode_32 0
		.amdhsa_float_round_mode_16_64 0
		.amdhsa_float_denorm_mode_32 3
		.amdhsa_float_denorm_mode_16_64 3
		.amdhsa_dx10_clamp 1
		.amdhsa_ieee_mode 1
		.amdhsa_fp16_overflow 0
		.amdhsa_workgroup_processor_mode 1
		.amdhsa_memory_ordered 1
		.amdhsa_forward_progress 0
		.amdhsa_shared_vgpr_count 0
		.amdhsa_exception_fp_ieee_invalid_op 0
		.amdhsa_exception_fp_denorm_src 0
		.amdhsa_exception_fp_ieee_div_zero 0
		.amdhsa_exception_fp_ieee_overflow 0
		.amdhsa_exception_fp_ieee_underflow 0
		.amdhsa_exception_fp_ieee_inexact 0
		.amdhsa_exception_int_div_zero 0
	.end_amdhsa_kernel
	.section	.text._ZN9rocsparseL23coomvn_aos_atomic_loopsILj256ELj1ElaaffEEvlNS_24const_host_device_scalarIT5_EEPKT1_PKT2_PKT3_PT4_21rocsparse_index_base_b,"axG",@progbits,_ZN9rocsparseL23coomvn_aos_atomic_loopsILj256ELj1ElaaffEEvlNS_24const_host_device_scalarIT5_EEPKT1_PKT2_PKT3_PT4_21rocsparse_index_base_b,comdat
.Lfunc_end43:
	.size	_ZN9rocsparseL23coomvn_aos_atomic_loopsILj256ELj1ElaaffEEvlNS_24const_host_device_scalarIT5_EEPKT1_PKT2_PKT3_PT4_21rocsparse_index_base_b, .Lfunc_end43-_ZN9rocsparseL23coomvn_aos_atomic_loopsILj256ELj1ElaaffEEvlNS_24const_host_device_scalarIT5_EEPKT1_PKT2_PKT3_PT4_21rocsparse_index_base_b
                                        ; -- End function
	.section	.AMDGPU.csdata,"",@progbits
; Kernel info:
; codeLenInByte = 1528
; NumSgprs: 18
; NumVgprs: 9
; ScratchSize: 0
; MemoryBound: 0
; FloatMode: 240
; IeeeMode: 1
; LDSByteSize: 3072 bytes/workgroup (compile time only)
; SGPRBlocks: 2
; VGPRBlocks: 1
; NumSGPRsForWavesPerEU: 18
; NumVGPRsForWavesPerEU: 9
; Occupancy: 16
; WaveLimiterHint : 1
; COMPUTE_PGM_RSRC2:SCRATCH_EN: 0
; COMPUTE_PGM_RSRC2:USER_SGPR: 15
; COMPUTE_PGM_RSRC2:TRAP_HANDLER: 0
; COMPUTE_PGM_RSRC2:TGID_X_EN: 1
; COMPUTE_PGM_RSRC2:TGID_Y_EN: 0
; COMPUTE_PGM_RSRC2:TGID_Z_EN: 0
; COMPUTE_PGM_RSRC2:TIDIG_COMP_CNT: 0
	.section	.text._ZN9rocsparseL17coomvt_aos_kernelILj1024ElaaffEEv20rocsparse_operation_lNS_24const_host_device_scalarIT4_EEPKT0_PKT1_PKT2_PT3_21rocsparse_index_base_b,"axG",@progbits,_ZN9rocsparseL17coomvt_aos_kernelILj1024ElaaffEEv20rocsparse_operation_lNS_24const_host_device_scalarIT4_EEPKT0_PKT1_PKT2_PT3_21rocsparse_index_base_b,comdat
	.globl	_ZN9rocsparseL17coomvt_aos_kernelILj1024ElaaffEEv20rocsparse_operation_lNS_24const_host_device_scalarIT4_EEPKT0_PKT1_PKT2_PT3_21rocsparse_index_base_b ; -- Begin function _ZN9rocsparseL17coomvt_aos_kernelILj1024ElaaffEEv20rocsparse_operation_lNS_24const_host_device_scalarIT4_EEPKT0_PKT1_PKT2_PT3_21rocsparse_index_base_b
	.p2align	8
	.type	_ZN9rocsparseL17coomvt_aos_kernelILj1024ElaaffEEv20rocsparse_operation_lNS_24const_host_device_scalarIT4_EEPKT0_PKT1_PKT2_PT3_21rocsparse_index_base_b,@function
_ZN9rocsparseL17coomvt_aos_kernelILj1024ElaaffEEv20rocsparse_operation_lNS_24const_host_device_scalarIT4_EEPKT0_PKT1_PKT2_PT3_21rocsparse_index_base_b: ; @_ZN9rocsparseL17coomvt_aos_kernelILj1024ElaaffEEv20rocsparse_operation_lNS_24const_host_device_scalarIT4_EEPKT0_PKT1_PKT2_PT3_21rocsparse_index_base_b
; %bb.0:
	s_clause 0x1
	s_load_b64 s[2:3], s[0:1], 0x38
	s_load_b128 s[4:7], s[0:1], 0x8
	s_waitcnt lgkmcnt(0)
	s_bitcmp1_b32 s3, 0
	s_cselect_b32 s3, -1, 0
	s_delay_alu instid0(SALU_CYCLE_1)
	s_and_b32 vcc_lo, exec_lo, s3
	s_cbranch_vccnz .LBB44_2
; %bb.1:
	s_load_b32 s6, s[6:7], 0x0
.LBB44_2:
	s_waitcnt lgkmcnt(0)
	v_cmp_eq_f32_e64 s3, s6, 0
	s_delay_alu instid0(VALU_DEP_1)
	s_and_b32 vcc_lo, exec_lo, s3
	s_cbranch_vccnz .LBB44_6
; %bb.3:
	s_load_b32 s3, s[0:1], 0x4c
	s_waitcnt lgkmcnt(0)
	s_and_b32 s3, s3, 0xffff
	s_delay_alu instid0(SALU_CYCLE_1) | instskip(SKIP_2) | instid1(VALU_DEP_1)
	v_mad_u64_u32 v[1:2], null, s15, s3, v[0:1]
	v_mov_b32_e32 v2, 0
	s_mov_b32 s3, exec_lo
	v_cmpx_gt_i64_e64 s[4:5], v[1:2]
	s_cbranch_execz .LBB44_6
; %bb.4:
	s_load_b256 s[8:15], s[0:1], 0x18
	v_lshlrev_b64 v[2:3], 4, v[1:2]
	s_waitcnt lgkmcnt(0)
	s_delay_alu instid0(VALU_DEP_1) | instskip(NEXT) | instid1(VALU_DEP_2)
	v_add_co_u32 v2, vcc_lo, s8, v2
	v_add_co_ci_u32_e32 v3, vcc_lo, s9, v3, vcc_lo
	v_add_co_u32 v0, s0, s10, v1
	s_delay_alu instid0(VALU_DEP_1)
	v_add_co_ci_u32_e64 v1, null, s11, 0, s0
	global_load_b128 v[2:5], v[2:3], off
	s_mov_b32 s0, 0
	global_load_i8 v6, v[0:1], off
	s_waitcnt vmcnt(1)
	v_sub_co_u32 v2, vcc_lo, v2, s2
	v_subrev_co_ci_u32_e32 v3, vcc_lo, 0, v3, vcc_lo
	v_sub_co_u32 v0, vcc_lo, v4, s2
	v_subrev_co_ci_u32_e32 v1, vcc_lo, 0, v5, vcc_lo
	s_delay_alu instid0(VALU_DEP_4) | instskip(NEXT) | instid1(VALU_DEP_4)
	v_add_co_u32 v2, vcc_lo, s12, v2
	v_add_co_ci_u32_e32 v3, vcc_lo, s13, v3, vcc_lo
	s_delay_alu instid0(VALU_DEP_3)
	v_lshlrev_b64 v[0:1], 2, v[0:1]
	s_waitcnt vmcnt(0)
	v_cvt_f32_i32_e32 v4, v6
	global_load_i8 v2, v[2:3], off
	v_add_co_u32 v0, vcc_lo, s14, v0
	v_add_co_ci_u32_e32 v1, vcc_lo, s15, v1, vcc_lo
	v_mul_f32_e32 v4, s6, v4
	global_load_b32 v3, v[0:1], off
	s_waitcnt vmcnt(1)
	v_cvt_f32_i32_e32 v2, v2
	s_delay_alu instid0(VALU_DEP_1)
	v_mul_f32_e32 v4, v4, v2
.LBB44_5:                               ; =>This Inner Loop Header: Depth=1
	s_waitcnt vmcnt(0)
	s_delay_alu instid0(VALU_DEP_1)
	v_add_f32_e32 v2, v3, v4
	global_atomic_cmpswap_b32 v2, v[0:1], v[2:3], off glc
	s_waitcnt vmcnt(0)
	v_cmp_eq_u32_e32 vcc_lo, v2, v3
	v_mov_b32_e32 v3, v2
	s_or_b32 s0, vcc_lo, s0
	s_delay_alu instid0(SALU_CYCLE_1)
	s_and_not1_b32 exec_lo, exec_lo, s0
	s_cbranch_execnz .LBB44_5
.LBB44_6:
	s_endpgm
	.section	.rodata,"a",@progbits
	.p2align	6, 0x0
	.amdhsa_kernel _ZN9rocsparseL17coomvt_aos_kernelILj1024ElaaffEEv20rocsparse_operation_lNS_24const_host_device_scalarIT4_EEPKT0_PKT1_PKT2_PT3_21rocsparse_index_base_b
		.amdhsa_group_segment_fixed_size 0
		.amdhsa_private_segment_fixed_size 0
		.amdhsa_kernarg_size 320
		.amdhsa_user_sgpr_count 15
		.amdhsa_user_sgpr_dispatch_ptr 0
		.amdhsa_user_sgpr_queue_ptr 0
		.amdhsa_user_sgpr_kernarg_segment_ptr 1
		.amdhsa_user_sgpr_dispatch_id 0
		.amdhsa_user_sgpr_private_segment_size 0
		.amdhsa_wavefront_size32 1
		.amdhsa_uses_dynamic_stack 0
		.amdhsa_enable_private_segment 0
		.amdhsa_system_sgpr_workgroup_id_x 1
		.amdhsa_system_sgpr_workgroup_id_y 0
		.amdhsa_system_sgpr_workgroup_id_z 0
		.amdhsa_system_sgpr_workgroup_info 0
		.amdhsa_system_vgpr_workitem_id 0
		.amdhsa_next_free_vgpr 7
		.amdhsa_next_free_sgpr 16
		.amdhsa_reserve_vcc 1
		.amdhsa_float_round_mode_32 0
		.amdhsa_float_round_mode_16_64 0
		.amdhsa_float_denorm_mode_32 3
		.amdhsa_float_denorm_mode_16_64 3
		.amdhsa_dx10_clamp 1
		.amdhsa_ieee_mode 1
		.amdhsa_fp16_overflow 0
		.amdhsa_workgroup_processor_mode 1
		.amdhsa_memory_ordered 1
		.amdhsa_forward_progress 0
		.amdhsa_shared_vgpr_count 0
		.amdhsa_exception_fp_ieee_invalid_op 0
		.amdhsa_exception_fp_denorm_src 0
		.amdhsa_exception_fp_ieee_div_zero 0
		.amdhsa_exception_fp_ieee_overflow 0
		.amdhsa_exception_fp_ieee_underflow 0
		.amdhsa_exception_fp_ieee_inexact 0
		.amdhsa_exception_int_div_zero 0
	.end_amdhsa_kernel
	.section	.text._ZN9rocsparseL17coomvt_aos_kernelILj1024ElaaffEEv20rocsparse_operation_lNS_24const_host_device_scalarIT4_EEPKT0_PKT1_PKT2_PT3_21rocsparse_index_base_b,"axG",@progbits,_ZN9rocsparseL17coomvt_aos_kernelILj1024ElaaffEEv20rocsparse_operation_lNS_24const_host_device_scalarIT4_EEPKT0_PKT1_PKT2_PT3_21rocsparse_index_base_b,comdat
.Lfunc_end44:
	.size	_ZN9rocsparseL17coomvt_aos_kernelILj1024ElaaffEEv20rocsparse_operation_lNS_24const_host_device_scalarIT4_EEPKT0_PKT1_PKT2_PT3_21rocsparse_index_base_b, .Lfunc_end44-_ZN9rocsparseL17coomvt_aos_kernelILj1024ElaaffEEv20rocsparse_operation_lNS_24const_host_device_scalarIT4_EEPKT0_PKT1_PKT2_PT3_21rocsparse_index_base_b
                                        ; -- End function
	.section	.AMDGPU.csdata,"",@progbits
; Kernel info:
; codeLenInByte = 368
; NumSgprs: 18
; NumVgprs: 7
; ScratchSize: 0
; MemoryBound: 0
; FloatMode: 240
; IeeeMode: 1
; LDSByteSize: 0 bytes/workgroup (compile time only)
; SGPRBlocks: 2
; VGPRBlocks: 0
; NumSGPRsForWavesPerEU: 18
; NumVGPRsForWavesPerEU: 7
; Occupancy: 16
; WaveLimiterHint : 1
; COMPUTE_PGM_RSRC2:SCRATCH_EN: 0
; COMPUTE_PGM_RSRC2:USER_SGPR: 15
; COMPUTE_PGM_RSRC2:TRAP_HANDLER: 0
; COMPUTE_PGM_RSRC2:TGID_X_EN: 1
; COMPUTE_PGM_RSRC2:TGID_Y_EN: 0
; COMPUTE_PGM_RSRC2:TGID_Z_EN: 0
; COMPUTE_PGM_RSRC2:TIDIG_COMP_CNT: 0
	.section	.text._ZN9rocsparseL26coomvn_aos_segmented_loopsILj256ElaaffEEvlT0_NS_24const_host_device_scalarIT4_EEPKS1_PKT1_PKT2_PT3_PS1_PS3_21rocsparse_index_base_b,"axG",@progbits,_ZN9rocsparseL26coomvn_aos_segmented_loopsILj256ElaaffEEvlT0_NS_24const_host_device_scalarIT4_EEPKS1_PKT1_PKT2_PT3_PS1_PS3_21rocsparse_index_base_b,comdat
	.globl	_ZN9rocsparseL26coomvn_aos_segmented_loopsILj256ElaaffEEvlT0_NS_24const_host_device_scalarIT4_EEPKS1_PKT1_PKT2_PT3_PS1_PS3_21rocsparse_index_base_b ; -- Begin function _ZN9rocsparseL26coomvn_aos_segmented_loopsILj256ElaaffEEvlT0_NS_24const_host_device_scalarIT4_EEPKS1_PKT1_PKT2_PT3_PS1_PS3_21rocsparse_index_base_b
	.p2align	8
	.type	_ZN9rocsparseL26coomvn_aos_segmented_loopsILj256ElaaffEEvlT0_NS_24const_host_device_scalarIT4_EEPKS1_PKT1_PKT2_PT3_PS1_PS3_21rocsparse_index_base_b,@function
_ZN9rocsparseL26coomvn_aos_segmented_loopsILj256ElaaffEEvlT0_NS_24const_host_device_scalarIT4_EEPKS1_PKT1_PKT2_PT3_PS1_PS3_21rocsparse_index_base_b: ; @_ZN9rocsparseL26coomvn_aos_segmented_loopsILj256ElaaffEEvlT0_NS_24const_host_device_scalarIT4_EEPKS1_PKT1_PKT2_PT3_PS1_PS3_21rocsparse_index_base_b
; %bb.0:
	s_clause 0x1
	s_load_b64 s[28:29], s[0:1], 0x48
	s_load_b64 s[26:27], s[0:1], 0x10
	s_mov_b32 s24, s15
	s_waitcnt lgkmcnt(0)
	s_bitcmp1_b32 s29, 0
	s_cselect_b32 s2, -1, 0
	s_delay_alu instid0(SALU_CYCLE_1)
	s_and_b32 vcc_lo, exec_lo, s2
	s_cbranch_vccnz .LBB45_2
; %bb.1:
	s_load_b32 s26, s[26:27], 0x0
.LBB45_2:
	s_waitcnt lgkmcnt(0)
	v_cmp_eq_f32_e64 s2, s26, 0
	s_mov_b32 s25, 0
	s_delay_alu instid0(VALU_DEP_1)
	s_and_b32 vcc_lo, exec_lo, s2
	s_cbranch_vccnz .LBB45_89
; %bb.3:
	s_clause 0x2
	s_load_b128 s[16:19], s[0:1], 0x0
	s_load_b128 s[20:23], s[0:1], 0x18
	s_load_b64 s[36:37], s[0:1], 0x28
	v_dual_mov_b32 v12, 0 :: v_dual_mov_b32 v1, -1
	v_mov_b32_e32 v2, -1
	s_waitcnt lgkmcnt(0)
	s_mul_i32 s3, s24, s19
	s_mul_hi_u32 s4, s24, s18
	s_mul_i32 s2, s24, s18
	s_add_i32 s3, s4, s3
	s_delay_alu instid0(SALU_CYCLE_1) | instskip(NEXT) | instid1(SALU_CYCLE_1)
	s_lshl_b64 s[2:3], s[2:3], 8
	v_mov_b32_e32 v4, s3
	v_or_b32_e32 v3, s2, v0
	s_mov_b32 s2, exec_lo
	s_delay_alu instid0(VALU_DEP_1)
	v_cmpx_gt_i64_e64 s[16:17], v[3:4]
	s_cbranch_execz .LBB45_5
; %bb.4:
	v_lshlrev_b64 v[1:2], 4, v[3:4]
	s_ashr_i32 s3, s28, 31
	s_delay_alu instid0(VALU_DEP_1) | instskip(NEXT) | instid1(VALU_DEP_2)
	v_add_co_u32 v1, vcc_lo, s20, v1
	v_add_co_ci_u32_e32 v2, vcc_lo, s21, v2, vcc_lo
	global_load_b128 v[5:8], v[1:2], off slc dlc
	v_add_co_u32 v1, vcc_lo, s22, v3
	v_add_co_ci_u32_e32 v2, vcc_lo, s23, v4, vcc_lo
	s_waitcnt vmcnt(0)
	v_add_co_u32 v7, vcc_lo, s36, v7
	v_add_co_ci_u32_e32 v8, vcc_lo, s37, v8, vcc_lo
	s_delay_alu instid0(VALU_DEP_2) | instskip(NEXT) | instid1(VALU_DEP_2)
	v_sub_co_u32 v7, vcc_lo, v7, s28
	v_subrev_co_ci_u32_e32 v8, vcc_lo, s3, v8, vcc_lo
	global_load_i8 v1, v[1:2], off slc dlc
	global_load_i8 v2, v[7:8], off
	s_waitcnt vmcnt(1)
	v_cvt_f32_i32_e32 v7, v1
	s_waitcnt vmcnt(0)
	v_cvt_f32_i32_e32 v8, v2
	v_sub_co_u32 v1, vcc_lo, v5, s28
	v_subrev_co_ci_u32_e32 v2, vcc_lo, 0, v6, vcc_lo
	s_delay_alu instid0(VALU_DEP_3)
	v_mul_f32_e32 v12, v7, v8
.LBB45_5:
	s_or_b32 exec_lo, exec_lo, s2
	v_lshlrev_b32_e32 v5, 2, v0
	v_lshlrev_b32_e32 v9, 3, v0
	v_cmp_eq_u32_e64 s2, 0, v0
	v_cmp_ne_u32_e64 s3, 0, v0
	ds_store_b64 v9, v[1:2]
	ds_store_b32 v5, v12 offset:2048
	v_or_b32_e32 v10, 0x800, v5
	v_add_nc_u32_e32 v11, -8, v9
	s_waitcnt lgkmcnt(0)
	s_barrier
	buffer_gl0_inv
	s_and_saveexec_b32 s4, s3
	s_cbranch_execz .LBB45_9
; %bb.6:
	ds_load_b64 v[5:6], v11
	s_mov_b32 s5, exec_lo
	s_waitcnt lgkmcnt(0)
	v_cmpx_eq_u64_e64 v[1:2], v[5:6]
	s_cbranch_execz .LBB45_8
; %bb.7:
	v_add_nc_u32_e32 v5, -4, v10
	ds_load_b32 v5, v5
	s_waitcnt lgkmcnt(0)
	v_add_f32_e32 v12, v12, v5
.LBB45_8:
	s_or_b32 exec_lo, exec_lo, s5
.LBB45_9:
	s_delay_alu instid0(SALU_CYCLE_1)
	s_or_b32 exec_lo, exec_lo, s4
	v_cmp_lt_u32_e64 s4, 1, v0
	v_add_nc_u32_e32 v13, -16, v9
	s_barrier
	buffer_gl0_inv
	ds_store_b32 v10, v12
	s_waitcnt lgkmcnt(0)
	s_barrier
	buffer_gl0_inv
	s_and_saveexec_b32 s5, s4
	s_cbranch_execz .LBB45_13
; %bb.10:
	ds_load_b64 v[5:6], v13
	s_mov_b32 s6, exec_lo
	s_waitcnt lgkmcnt(0)
	v_cmpx_eq_u64_e64 v[1:2], v[5:6]
	s_cbranch_execz .LBB45_12
; %bb.11:
	v_add_nc_u32_e32 v5, -8, v10
	ds_load_b32 v5, v5
	s_waitcnt lgkmcnt(0)
	v_add_f32_e32 v12, v12, v5
.LBB45_12:
	s_or_b32 exec_lo, exec_lo, s6
.LBB45_13:
	s_delay_alu instid0(SALU_CYCLE_1)
	s_or_b32 exec_lo, exec_lo, s5
	v_cmp_lt_u32_e64 s5, 3, v0
	v_subrev_nc_u32_e32 v14, 32, v9
	s_barrier
	buffer_gl0_inv
	ds_store_b32 v10, v12
	s_waitcnt lgkmcnt(0)
	s_barrier
	buffer_gl0_inv
	s_and_saveexec_b32 s6, s5
	s_cbranch_execz .LBB45_17
; %bb.14:
	ds_load_b64 v[5:6], v14
	s_mov_b32 s7, exec_lo
	s_waitcnt lgkmcnt(0)
	v_cmpx_eq_u64_e64 v[1:2], v[5:6]
	s_cbranch_execz .LBB45_16
; %bb.15:
	v_add_nc_u32_e32 v5, -16, v10
	ds_load_b32 v5, v5
	s_waitcnt lgkmcnt(0)
	v_add_f32_e32 v12, v12, v5
.LBB45_16:
	s_or_b32 exec_lo, exec_lo, s7
.LBB45_17:
	s_delay_alu instid0(SALU_CYCLE_1)
	s_or_b32 exec_lo, exec_lo, s6
	v_cmp_lt_u32_e64 s6, 7, v0
	v_subrev_nc_u32_e32 v15, 64, v9
	s_barrier
	buffer_gl0_inv
	ds_store_b32 v10, v12
	s_waitcnt lgkmcnt(0)
	s_barrier
	buffer_gl0_inv
	s_and_saveexec_b32 s7, s6
	s_cbranch_execz .LBB45_21
; %bb.18:
	ds_load_b64 v[5:6], v15
	s_mov_b32 s8, exec_lo
	s_waitcnt lgkmcnt(0)
	v_cmpx_eq_u64_e64 v[1:2], v[5:6]
	s_cbranch_execz .LBB45_20
; %bb.19:
	v_subrev_nc_u32_e32 v5, 32, v10
	ds_load_b32 v5, v5
	s_waitcnt lgkmcnt(0)
	v_add_f32_e32 v12, v12, v5
.LBB45_20:
	s_or_b32 exec_lo, exec_lo, s8
.LBB45_21:
	s_delay_alu instid0(SALU_CYCLE_1)
	s_or_b32 exec_lo, exec_lo, s7
	v_cmp_lt_u32_e64 s7, 15, v0
	v_add_nc_u32_e32 v16, 0xffffff80, v9
	s_barrier
	buffer_gl0_inv
	ds_store_b32 v10, v12
	s_waitcnt lgkmcnt(0)
	s_barrier
	buffer_gl0_inv
	s_and_saveexec_b32 s8, s7
	s_cbranch_execz .LBB45_25
; %bb.22:
	ds_load_b64 v[5:6], v16
	s_mov_b32 s9, exec_lo
	s_waitcnt lgkmcnt(0)
	v_cmpx_eq_u64_e64 v[1:2], v[5:6]
	s_cbranch_execz .LBB45_24
; %bb.23:
	v_subrev_nc_u32_e32 v5, 64, v10
	ds_load_b32 v5, v5
	s_waitcnt lgkmcnt(0)
	v_add_f32_e32 v12, v12, v5
.LBB45_24:
	s_or_b32 exec_lo, exec_lo, s9
.LBB45_25:
	s_delay_alu instid0(SALU_CYCLE_1)
	s_or_b32 exec_lo, exec_lo, s8
	v_cmp_lt_u32_e64 s8, 31, v0
	v_add_nc_u32_e32 v17, 0xffffff00, v9
	s_barrier
	buffer_gl0_inv
	ds_store_b32 v10, v12
	s_waitcnt lgkmcnt(0)
	s_barrier
	buffer_gl0_inv
	s_and_saveexec_b32 s9, s8
	s_cbranch_execz .LBB45_29
; %bb.26:
	ds_load_b64 v[5:6], v17
	s_mov_b32 s10, exec_lo
	s_waitcnt lgkmcnt(0)
	v_cmpx_eq_u64_e64 v[1:2], v[5:6]
	s_cbranch_execz .LBB45_28
; %bb.27:
	v_add_nc_u32_e32 v5, 0xffffff80, v10
	ds_load_b32 v5, v5
	s_waitcnt lgkmcnt(0)
	v_add_f32_e32 v12, v12, v5
.LBB45_28:
	s_or_b32 exec_lo, exec_lo, s10
.LBB45_29:
	s_delay_alu instid0(SALU_CYCLE_1)
	s_or_b32 exec_lo, exec_lo, s9
	v_cmp_lt_u32_e64 s9, 63, v0
	v_add_nc_u32_e32 v18, 0xfffffe00, v9
	s_barrier
	buffer_gl0_inv
	ds_store_b32 v10, v12
	s_waitcnt lgkmcnt(0)
	s_barrier
	buffer_gl0_inv
	s_and_saveexec_b32 s10, s9
	s_cbranch_execz .LBB45_33
; %bb.30:
	ds_load_b64 v[5:6], v18
	s_mov_b32 s11, exec_lo
	s_waitcnt lgkmcnt(0)
	v_cmpx_eq_u64_e64 v[1:2], v[5:6]
	s_cbranch_execz .LBB45_32
; %bb.31:
	v_add_nc_u32_e32 v5, 0xffffff00, v10
	ds_load_b32 v5, v5
	s_waitcnt lgkmcnt(0)
	v_add_f32_e32 v12, v12, v5
.LBB45_32:
	s_or_b32 exec_lo, exec_lo, s11
.LBB45_33:
	s_delay_alu instid0(SALU_CYCLE_1)
	s_or_b32 exec_lo, exec_lo, s10
	s_load_b64 s[30:31], s[0:1], 0x30
	v_cmp_lt_u32_e64 s10, 0x7f, v0
	v_add_nc_u32_e32 v19, 0xfffffc00, v9
	s_waitcnt lgkmcnt(0)
	s_barrier
	buffer_gl0_inv
	ds_store_b32 v10, v12
	s_waitcnt lgkmcnt(0)
	s_barrier
	buffer_gl0_inv
	s_and_saveexec_b32 s11, s10
	s_cbranch_execz .LBB45_37
; %bb.34:
	ds_load_b64 v[5:6], v19
	s_mov_b32 s12, exec_lo
	s_waitcnt lgkmcnt(0)
	v_cmpx_eq_u64_e64 v[1:2], v[5:6]
	s_cbranch_execz .LBB45_36
; %bb.35:
	v_add_nc_u32_e32 v5, 0xfffffe00, v10
	ds_load_b32 v5, v5
	s_waitcnt lgkmcnt(0)
	v_add_f32_e32 v12, v12, v5
.LBB45_36:
	s_or_b32 exec_lo, exec_lo, s12
.LBB45_37:
	s_delay_alu instid0(SALU_CYCLE_1)
	s_or_b32 exec_lo, exec_lo, s11
	v_cmp_gt_u32_e64 s11, 0xff, v0
	s_barrier
	buffer_gl0_inv
	ds_store_b32 v10, v12
	s_waitcnt lgkmcnt(0)
	s_barrier
	buffer_gl0_inv
	s_and_saveexec_b32 s13, s11
	s_cbranch_execz .LBB45_40
; %bb.38:
	ds_load_b64 v[5:6], v9 offset:8
	v_cmp_lt_i64_e64 s12, -1, v[1:2]
	s_waitcnt lgkmcnt(0)
	v_cmp_ne_u64_e32 vcc_lo, v[1:2], v[5:6]
	s_delay_alu instid0(VALU_DEP_2) | instskip(NEXT) | instid1(SALU_CYCLE_1)
	s_and_b32 s12, s12, vcc_lo
	s_and_b32 exec_lo, exec_lo, s12
	s_cbranch_execz .LBB45_40
; %bb.39:
	v_lshlrev_b64 v[5:6], 2, v[1:2]
	s_delay_alu instid0(VALU_DEP_1) | instskip(NEXT) | instid1(VALU_DEP_2)
	v_add_co_u32 v5, vcc_lo, s30, v5
	v_add_co_ci_u32_e32 v6, vcc_lo, s31, v6, vcc_lo
	global_load_b32 v7, v[5:6], off
	s_waitcnt vmcnt(0)
	v_fmac_f32_e32 v7, s26, v12
	global_store_b32 v[5:6], v7, off
.LBB45_40:
	s_or_b32 exec_lo, exec_lo, s13
	s_load_b128 s[12:15], s[0:1], 0x38
	v_cmp_lt_i64_e64 s0, s[18:19], 2
	s_delay_alu instid0(VALU_DEP_1)
	s_and_b32 vcc_lo, exec_lo, s0
	s_cbranch_vccnz .LBB45_87
; %bb.41:
	s_add_u32 s34, s18, -1
	s_addc_u32 s35, s19, -1
	s_ashr_i32 s0, s28, 31
	s_sub_u32 s1, s36, s28
	s_subb_u32 s27, s37, s0
	s_mul_i32 s0, s19, s24
	s_mul_hi_u32 s19, s18, s24
	s_mul_i32 s18, s18, s24
	s_add_i32 s19, s19, s0
	v_lshlrev_b32_e32 v1, 4, v0
	s_lshl_b64 s[18:19], s[18:19], 12
	v_add_co_u32 v3, vcc_lo, 0x100, v3
	s_add_u32 s0, s20, s18
	s_addc_u32 s18, s21, s19
	v_add_co_u32 v1, s0, s0, v1
	s_delay_alu instid0(VALU_DEP_1) | instskip(SKIP_1) | instid1(VALU_DEP_3)
	v_add_co_ci_u32_e64 v2, null, s18, 0, s0
	v_add_co_ci_u32_e32 v4, vcc_lo, 0, v4, vcc_lo
	v_add_co_u32 v5, vcc_lo, 0x1008, v1
	v_add_nc_u32_e32 v20, -4, v10
	v_dual_mov_b32 v28, 0 :: v_dual_add_nc_u32 v21, -8, v10
	v_add_nc_u32_e32 v22, -16, v10
	v_subrev_nc_u32_e32 v23, 32, v10
	v_subrev_nc_u32_e32 v24, 64, v10
	v_add_nc_u32_e32 v25, 0xffffff80, v10
	v_add_nc_u32_e32 v26, 0xffffff00, v10
	;; [unrolled: 1-line block ×3, first 2 shown]
	v_add_co_ci_u32_e32 v6, vcc_lo, 0, v2, vcc_lo
	s_mov_b64 s[18:19], 0
	s_branch .LBB45_43
.LBB45_42:                              ;   in Loop: Header=BB45_43 Depth=1
	s_or_b32 exec_lo, exec_lo, s20
	s_add_u32 s18, s18, 1
	s_addc_u32 s19, s19, 0
	v_add_co_u32 v3, vcc_lo, 0x100, v3
	v_cmp_le_u64_e64 s0, s[34:35], s[18:19]
	v_add_co_ci_u32_e32 v4, vcc_lo, 0, v4, vcc_lo
	v_add_co_u32 v5, vcc_lo, 0x1000, v5
	v_add_co_ci_u32_e32 v6, vcc_lo, 0, v6, vcc_lo
	s_delay_alu instid0(VALU_DEP_4)
	s_and_b32 vcc_lo, exec_lo, s0
	s_cbranch_vccnz .LBB45_87
.LBB45_43:                              ; =>This Inner Loop Header: Depth=1
	v_dual_mov_b32 v1, -1 :: v_dual_mov_b32 v12, 0
	v_mov_b32_e32 v2, -1
	s_mov_b32 s0, exec_lo
	v_cmpx_gt_i64_e64 s[16:17], v[3:4]
	s_cbranch_execz .LBB45_45
; %bb.44:                               ;   in Loop: Header=BB45_43 Depth=1
	global_load_b128 v[29:32], v[5:6], off offset:-8 slc dlc
	v_add_co_u32 v1, vcc_lo, s22, v3
	v_add_co_ci_u32_e32 v2, vcc_lo, s23, v4, vcc_lo
	s_waitcnt vmcnt(0)
	v_add_co_u32 v7, vcc_lo, s1, v31
	v_add_co_ci_u32_e32 v8, vcc_lo, s27, v32, vcc_lo
	global_load_i8 v1, v[1:2], off slc dlc
	global_load_i8 v2, v[7:8], off
	s_waitcnt vmcnt(1)
	v_cvt_f32_i32_e32 v7, v1
	s_waitcnt vmcnt(0)
	v_cvt_f32_i32_e32 v8, v2
	v_sub_co_u32 v1, vcc_lo, v29, s28
	v_subrev_co_ci_u32_e32 v2, vcc_lo, 0, v30, vcc_lo
	s_delay_alu instid0(VALU_DEP_3)
	v_mul_f32_e32 v12, v7, v8
.LBB45_45:                              ;   in Loop: Header=BB45_43 Depth=1
	s_or_b32 exec_lo, exec_lo, s0
	s_and_saveexec_b32 s0, s2
	s_cbranch_execz .LBB45_52
; %bb.46:                               ;   in Loop: Header=BB45_43 Depth=1
	ds_load_b64 v[7:8], v28 offset:2040
	s_mov_b32 s20, exec_lo
	s_waitcnt lgkmcnt(0)
	v_cmpx_ne_u64_e64 v[1:2], v[7:8]
	s_xor_b32 s20, exec_lo, s20
	s_cbranch_execz .LBB45_49
; %bb.47:                               ;   in Loop: Header=BB45_43 Depth=1
	v_cmp_gt_i64_e32 vcc_lo, 0, v[7:8]
	s_cbranch_vccnz .LBB45_49
; %bb.48:                               ;   in Loop: Header=BB45_43 Depth=1
	v_lshlrev_b64 v[7:8], 2, v[7:8]
	ds_load_b32 v30, v28 offset:3068
	v_add_co_u32 v7, vcc_lo, s30, v7
	v_add_co_ci_u32_e32 v8, vcc_lo, s31, v8, vcc_lo
	global_load_b32 v29, v[7:8], off
	s_waitcnt vmcnt(0) lgkmcnt(0)
	v_fmac_f32_e32 v29, s26, v30
	global_store_b32 v[7:8], v29, off
.LBB45_49:                              ;   in Loop: Header=BB45_43 Depth=1
	s_and_not1_saveexec_b32 s20, s20
	s_cbranch_execz .LBB45_51
; %bb.50:                               ;   in Loop: Header=BB45_43 Depth=1
	ds_load_b32 v7, v28 offset:3068
	s_waitcnt lgkmcnt(0)
	v_add_f32_e32 v12, v12, v7
.LBB45_51:                              ;   in Loop: Header=BB45_43 Depth=1
	s_or_b32 exec_lo, exec_lo, s20
.LBB45_52:                              ;   in Loop: Header=BB45_43 Depth=1
	s_delay_alu instid0(SALU_CYCLE_1)
	s_or_b32 exec_lo, exec_lo, s0
	s_waitcnt lgkmcnt(0)
	s_waitcnt_vscnt null, 0x0
	s_barrier
	buffer_gl0_inv
	ds_store_b64 v9, v[1:2]
	ds_store_b32 v10, v12
	s_waitcnt lgkmcnt(0)
	s_barrier
	buffer_gl0_inv
	s_and_saveexec_b32 s0, s3
	s_cbranch_execz .LBB45_56
; %bb.53:                               ;   in Loop: Header=BB45_43 Depth=1
	ds_load_b64 v[7:8], v11
	s_mov_b32 s20, exec_lo
	s_waitcnt lgkmcnt(0)
	v_cmpx_eq_u64_e64 v[1:2], v[7:8]
	s_cbranch_execz .LBB45_55
; %bb.54:                               ;   in Loop: Header=BB45_43 Depth=1
	ds_load_b32 v7, v20
	s_waitcnt lgkmcnt(0)
	v_add_f32_e32 v12, v12, v7
.LBB45_55:                              ;   in Loop: Header=BB45_43 Depth=1
	s_or_b32 exec_lo, exec_lo, s20
.LBB45_56:                              ;   in Loop: Header=BB45_43 Depth=1
	s_delay_alu instid0(SALU_CYCLE_1)
	s_or_b32 exec_lo, exec_lo, s0
	s_barrier
	buffer_gl0_inv
	ds_store_b32 v10, v12
	s_waitcnt lgkmcnt(0)
	s_barrier
	buffer_gl0_inv
	s_and_saveexec_b32 s0, s4
	s_cbranch_execz .LBB45_60
; %bb.57:                               ;   in Loop: Header=BB45_43 Depth=1
	ds_load_b64 v[7:8], v13
	s_mov_b32 s20, exec_lo
	s_waitcnt lgkmcnt(0)
	v_cmpx_eq_u64_e64 v[1:2], v[7:8]
	s_cbranch_execz .LBB45_59
; %bb.58:                               ;   in Loop: Header=BB45_43 Depth=1
	ds_load_b32 v7, v21
	s_waitcnt lgkmcnt(0)
	v_add_f32_e32 v12, v12, v7
.LBB45_59:                              ;   in Loop: Header=BB45_43 Depth=1
	s_or_b32 exec_lo, exec_lo, s20
.LBB45_60:                              ;   in Loop: Header=BB45_43 Depth=1
	s_delay_alu instid0(SALU_CYCLE_1)
	s_or_b32 exec_lo, exec_lo, s0
	s_barrier
	buffer_gl0_inv
	;; [unrolled: 23-line block ×8, first 2 shown]
	ds_store_b32 v10, v12
	s_waitcnt lgkmcnt(0)
	s_barrier
	buffer_gl0_inv
	s_and_saveexec_b32 s20, s11
	s_cbranch_execz .LBB45_42
; %bb.85:                               ;   in Loop: Header=BB45_43 Depth=1
	ds_load_b64 v[7:8], v9 offset:8
	v_cmp_lt_i64_e64 s0, -1, v[1:2]
	s_waitcnt lgkmcnt(0)
	v_cmp_ne_u64_e32 vcc_lo, v[1:2], v[7:8]
	s_delay_alu instid0(VALU_DEP_2) | instskip(NEXT) | instid1(SALU_CYCLE_1)
	s_and_b32 s0, s0, vcc_lo
	s_and_b32 exec_lo, exec_lo, s0
	s_cbranch_execz .LBB45_42
; %bb.86:                               ;   in Loop: Header=BB45_43 Depth=1
	v_lshlrev_b64 v[7:8], 2, v[1:2]
	s_delay_alu instid0(VALU_DEP_1) | instskip(NEXT) | instid1(VALU_DEP_2)
	v_add_co_u32 v7, vcc_lo, s30, v7
	v_add_co_ci_u32_e32 v8, vcc_lo, s31, v8, vcc_lo
	global_load_b32 v29, v[7:8], off
	s_waitcnt vmcnt(0)
	v_fmac_f32_e32 v29, s26, v12
	global_store_b32 v[7:8], v29, off
	s_branch .LBB45_42
.LBB45_87:
	s_mov_b32 s0, exec_lo
	v_cmpx_eq_u32_e32 0xff, v0
	s_cbranch_execz .LBB45_89
; %bb.88:
	s_lshl_b64 s[0:1], s[24:25], 3
	v_dual_mov_b32 v0, 0 :: v_dual_mul_f32 v3, s26, v12
	s_waitcnt lgkmcnt(0)
	s_add_u32 s0, s12, s0
	s_addc_u32 s1, s13, s1
	s_lshl_b64 s[2:3], s[24:25], 2
	s_delay_alu instid0(SALU_CYCLE_1)
	s_add_u32 s2, s14, s2
	s_addc_u32 s3, s15, s3
	s_clause 0x1
	global_store_b64 v0, v[1:2], s[0:1] glc slc dlc
	global_store_b32 v0, v3, s[2:3] glc slc dlc
.LBB45_89:
	s_nop 0
	s_sendmsg sendmsg(MSG_DEALLOC_VGPRS)
	s_endpgm
	.section	.rodata,"a",@progbits
	.p2align	6, 0x0
	.amdhsa_kernel _ZN9rocsparseL26coomvn_aos_segmented_loopsILj256ElaaffEEvlT0_NS_24const_host_device_scalarIT4_EEPKS1_PKT1_PKT2_PT3_PS1_PS3_21rocsparse_index_base_b
		.amdhsa_group_segment_fixed_size 3072
		.amdhsa_private_segment_fixed_size 0
		.amdhsa_kernarg_size 80
		.amdhsa_user_sgpr_count 15
		.amdhsa_user_sgpr_dispatch_ptr 0
		.amdhsa_user_sgpr_queue_ptr 0
		.amdhsa_user_sgpr_kernarg_segment_ptr 1
		.amdhsa_user_sgpr_dispatch_id 0
		.amdhsa_user_sgpr_private_segment_size 0
		.amdhsa_wavefront_size32 1
		.amdhsa_uses_dynamic_stack 0
		.amdhsa_enable_private_segment 0
		.amdhsa_system_sgpr_workgroup_id_x 1
		.amdhsa_system_sgpr_workgroup_id_y 0
		.amdhsa_system_sgpr_workgroup_id_z 0
		.amdhsa_system_sgpr_workgroup_info 0
		.amdhsa_system_vgpr_workitem_id 0
		.amdhsa_next_free_vgpr 33
		.amdhsa_next_free_sgpr 38
		.amdhsa_reserve_vcc 1
		.amdhsa_float_round_mode_32 0
		.amdhsa_float_round_mode_16_64 0
		.amdhsa_float_denorm_mode_32 3
		.amdhsa_float_denorm_mode_16_64 3
		.amdhsa_dx10_clamp 1
		.amdhsa_ieee_mode 1
		.amdhsa_fp16_overflow 0
		.amdhsa_workgroup_processor_mode 1
		.amdhsa_memory_ordered 1
		.amdhsa_forward_progress 0
		.amdhsa_shared_vgpr_count 0
		.amdhsa_exception_fp_ieee_invalid_op 0
		.amdhsa_exception_fp_denorm_src 0
		.amdhsa_exception_fp_ieee_div_zero 0
		.amdhsa_exception_fp_ieee_overflow 0
		.amdhsa_exception_fp_ieee_underflow 0
		.amdhsa_exception_fp_ieee_inexact 0
		.amdhsa_exception_int_div_zero 0
	.end_amdhsa_kernel
	.section	.text._ZN9rocsparseL26coomvn_aos_segmented_loopsILj256ElaaffEEvlT0_NS_24const_host_device_scalarIT4_EEPKS1_PKT1_PKT2_PT3_PS1_PS3_21rocsparse_index_base_b,"axG",@progbits,_ZN9rocsparseL26coomvn_aos_segmented_loopsILj256ElaaffEEvlT0_NS_24const_host_device_scalarIT4_EEPKS1_PKT1_PKT2_PT3_PS1_PS3_21rocsparse_index_base_b,comdat
.Lfunc_end45:
	.size	_ZN9rocsparseL26coomvn_aos_segmented_loopsILj256ElaaffEEvlT0_NS_24const_host_device_scalarIT4_EEPKS1_PKT1_PKT2_PT3_PS1_PS3_21rocsparse_index_base_b, .Lfunc_end45-_ZN9rocsparseL26coomvn_aos_segmented_loopsILj256ElaaffEEvlT0_NS_24const_host_device_scalarIT4_EEPKS1_PKT1_PKT2_PT3_PS1_PS3_21rocsparse_index_base_b
                                        ; -- End function
	.section	.AMDGPU.csdata,"",@progbits
; Kernel info:
; codeLenInByte = 3004
; NumSgprs: 40
; NumVgprs: 33
; ScratchSize: 0
; MemoryBound: 0
; FloatMode: 240
; IeeeMode: 1
; LDSByteSize: 3072 bytes/workgroup (compile time only)
; SGPRBlocks: 4
; VGPRBlocks: 4
; NumSGPRsForWavesPerEU: 40
; NumVGPRsForWavesPerEU: 33
; Occupancy: 16
; WaveLimiterHint : 1
; COMPUTE_PGM_RSRC2:SCRATCH_EN: 0
; COMPUTE_PGM_RSRC2:USER_SGPR: 15
; COMPUTE_PGM_RSRC2:TRAP_HANDLER: 0
; COMPUTE_PGM_RSRC2:TGID_X_EN: 1
; COMPUTE_PGM_RSRC2:TGID_Y_EN: 0
; COMPUTE_PGM_RSRC2:TGID_Z_EN: 0
; COMPUTE_PGM_RSRC2:TIDIG_COMP_CNT: 0
	.section	.text._ZN9rocsparseL23coomvn_aos_atomic_loopsILj256ELj1EiDF16_DF16_ffEEvlNS_24const_host_device_scalarIT5_EEPKT1_PKT2_PKT3_PT4_21rocsparse_index_base_b,"axG",@progbits,_ZN9rocsparseL23coomvn_aos_atomic_loopsILj256ELj1EiDF16_DF16_ffEEvlNS_24const_host_device_scalarIT5_EEPKT1_PKT2_PKT3_PT4_21rocsparse_index_base_b,comdat
	.globl	_ZN9rocsparseL23coomvn_aos_atomic_loopsILj256ELj1EiDF16_DF16_ffEEvlNS_24const_host_device_scalarIT5_EEPKT1_PKT2_PKT3_PT4_21rocsparse_index_base_b ; -- Begin function _ZN9rocsparseL23coomvn_aos_atomic_loopsILj256ELj1EiDF16_DF16_ffEEvlNS_24const_host_device_scalarIT5_EEPKT1_PKT2_PKT3_PT4_21rocsparse_index_base_b
	.p2align	8
	.type	_ZN9rocsparseL23coomvn_aos_atomic_loopsILj256ELj1EiDF16_DF16_ffEEvlNS_24const_host_device_scalarIT5_EEPKT1_PKT2_PKT3_PT4_21rocsparse_index_base_b,@function
_ZN9rocsparseL23coomvn_aos_atomic_loopsILj256ELj1EiDF16_DF16_ffEEvlNS_24const_host_device_scalarIT5_EEPKT1_PKT2_PKT3_PT4_21rocsparse_index_base_b: ; @_ZN9rocsparseL23coomvn_aos_atomic_loopsILj256ELj1EiDF16_DF16_ffEEvlNS_24const_host_device_scalarIT5_EEPKT1_PKT2_PKT3_PT4_21rocsparse_index_base_b
; %bb.0:
	s_clause 0x1
	s_load_b64 s[2:3], s[0:1], 0x30
	s_load_b128 s[4:7], s[0:1], 0x0
	s_waitcnt lgkmcnt(0)
	s_bitcmp1_b32 s3, 0
	s_cselect_b32 s3, -1, 0
	s_delay_alu instid0(SALU_CYCLE_1)
	s_and_b32 vcc_lo, exec_lo, s3
	s_cbranch_vccnz .LBB46_2
; %bb.1:
	s_load_b32 s6, s[6:7], 0x0
.LBB46_2:
	s_waitcnt lgkmcnt(0)
	v_cmp_eq_f32_e64 s3, s6, 0
	s_delay_alu instid0(VALU_DEP_1)
	s_and_b32 vcc_lo, exec_lo, s3
	s_cbranch_vccnz .LBB46_44
; %bb.3:
	v_lshl_or_b32 v1, s15, 8, v0
	v_dual_mov_b32 v2, 0 :: v_dual_mov_b32 v3, -1
	s_mov_b32 s3, exec_lo
	s_delay_alu instid0(VALU_DEP_1)
	v_cmpx_gt_i64_e64 s[4:5], v[1:2]
	s_cbranch_execz .LBB46_5
; %bb.4:
	s_clause 0x1
	s_load_b128 s[8:11], s[0:1], 0x10
	s_load_b64 s[4:5], s[0:1], 0x20
	v_lshlrev_b64 v[3:4], 3, v[1:2]
	v_lshlrev_b64 v[1:2], 1, v[1:2]
	s_waitcnt lgkmcnt(0)
	s_delay_alu instid0(VALU_DEP_2) | instskip(NEXT) | instid1(VALU_DEP_3)
	v_add_co_u32 v3, vcc_lo, s8, v3
	v_add_co_ci_u32_e32 v4, vcc_lo, s9, v4, vcc_lo
	s_delay_alu instid0(VALU_DEP_3) | instskip(NEXT) | instid1(VALU_DEP_4)
	v_add_co_u32 v1, vcc_lo, s10, v1
	v_add_co_ci_u32_e32 v2, vcc_lo, s11, v2, vcc_lo
	global_load_b64 v[3:4], v[3:4], off slc dlc
	s_waitcnt vmcnt(0)
	v_subrev_nc_u32_e32 v4, s2, v4
	v_subrev_nc_u32_e32 v3, s2, v3
	s_delay_alu instid0(VALU_DEP_2) | instskip(NEXT) | instid1(VALU_DEP_1)
	v_ashrrev_i32_e32 v5, 31, v4
	v_lshlrev_b64 v[4:5], 1, v[4:5]
	s_delay_alu instid0(VALU_DEP_1) | instskip(NEXT) | instid1(VALU_DEP_2)
	v_add_co_u32 v4, vcc_lo, s4, v4
	v_add_co_ci_u32_e32 v5, vcc_lo, s5, v5, vcc_lo
	global_load_u16 v1, v[1:2], off
	global_load_u16 v2, v[4:5], off
	s_waitcnt vmcnt(1)
	v_cvt_f32_f16_e32 v1, v1
	s_waitcnt vmcnt(0)
	v_cvt_f32_f16_e32 v2, v2
	s_delay_alu instid0(VALU_DEP_1)
	v_mul_f32_e32 v2, v1, v2
.LBB46_5:
	s_or_b32 exec_lo, exec_lo, s3
	v_lshlrev_b32_e32 v1, 2, v0
	s_mov_b32 s2, exec_lo
	s_delay_alu instid0(VALU_DEP_1)
	v_or_b32_e32 v4, 0x400, v1
	ds_store_2addr_stride64_b32 v1, v3, v2 offset1:4
	s_waitcnt lgkmcnt(0)
	s_barrier
	buffer_gl0_inv
	v_cmpx_ne_u32_e32 0, v0
	s_cbranch_execz .LBB46_9
; %bb.6:
	v_add_nc_u32_e32 v5, -4, v1
	s_mov_b32 s3, exec_lo
	ds_load_b32 v5, v5
	s_waitcnt lgkmcnt(0)
	v_cmpx_eq_u32_e64 v3, v5
	s_cbranch_execz .LBB46_8
; %bb.7:
	v_add_nc_u32_e32 v5, -4, v4
	ds_load_b32 v5, v5
	s_waitcnt lgkmcnt(0)
	v_add_f32_e32 v2, v2, v5
.LBB46_8:
	s_or_b32 exec_lo, exec_lo, s3
.LBB46_9:
	s_delay_alu instid0(SALU_CYCLE_1) | instskip(NEXT) | instid1(SALU_CYCLE_1)
	s_or_b32 exec_lo, exec_lo, s2
	s_mov_b32 s2, exec_lo
	s_barrier
	buffer_gl0_inv
	ds_store_b32 v4, v2
	s_waitcnt lgkmcnt(0)
	s_barrier
	buffer_gl0_inv
	v_cmpx_lt_u32_e32 1, v0
	s_cbranch_execz .LBB46_13
; %bb.10:
	v_add_nc_u32_e32 v5, -8, v1
	s_mov_b32 s3, exec_lo
	ds_load_b32 v5, v5
	s_waitcnt lgkmcnt(0)
	v_cmpx_eq_u32_e64 v3, v5
	s_cbranch_execz .LBB46_12
; %bb.11:
	v_add_nc_u32_e32 v5, -8, v4
	ds_load_b32 v5, v5
	s_waitcnt lgkmcnt(0)
	v_add_f32_e32 v2, v2, v5
.LBB46_12:
	s_or_b32 exec_lo, exec_lo, s3
.LBB46_13:
	s_delay_alu instid0(SALU_CYCLE_1) | instskip(NEXT) | instid1(SALU_CYCLE_1)
	s_or_b32 exec_lo, exec_lo, s2
	s_mov_b32 s2, exec_lo
	s_barrier
	buffer_gl0_inv
	ds_store_b32 v4, v2
	s_waitcnt lgkmcnt(0)
	s_barrier
	buffer_gl0_inv
	v_cmpx_lt_u32_e32 3, v0
	;; [unrolled: 26-line block ×3, first 2 shown]
	s_cbranch_execz .LBB46_21
; %bb.18:
	v_subrev_nc_u32_e32 v5, 32, v1
	s_mov_b32 s3, exec_lo
	ds_load_b32 v5, v5
	s_waitcnt lgkmcnt(0)
	v_cmpx_eq_u32_e64 v3, v5
	s_cbranch_execz .LBB46_20
; %bb.19:
	v_subrev_nc_u32_e32 v5, 32, v4
	ds_load_b32 v5, v5
	s_waitcnt lgkmcnt(0)
	v_add_f32_e32 v2, v2, v5
.LBB46_20:
	s_or_b32 exec_lo, exec_lo, s3
.LBB46_21:
	s_delay_alu instid0(SALU_CYCLE_1) | instskip(NEXT) | instid1(SALU_CYCLE_1)
	s_or_b32 exec_lo, exec_lo, s2
	s_mov_b32 s2, exec_lo
	s_barrier
	buffer_gl0_inv
	ds_store_b32 v4, v2
	s_waitcnt lgkmcnt(0)
	s_barrier
	buffer_gl0_inv
	v_cmpx_lt_u32_e32 15, v0
	s_cbranch_execz .LBB46_25
; %bb.22:
	v_subrev_nc_u32_e32 v5, 64, v1
	s_mov_b32 s3, exec_lo
	ds_load_b32 v5, v5
	s_waitcnt lgkmcnt(0)
	v_cmpx_eq_u32_e64 v3, v5
	s_cbranch_execz .LBB46_24
; %bb.23:
	v_subrev_nc_u32_e32 v5, 64, v4
	ds_load_b32 v5, v5
	s_waitcnt lgkmcnt(0)
	v_add_f32_e32 v2, v2, v5
.LBB46_24:
	s_or_b32 exec_lo, exec_lo, s3
.LBB46_25:
	s_delay_alu instid0(SALU_CYCLE_1) | instskip(NEXT) | instid1(SALU_CYCLE_1)
	s_or_b32 exec_lo, exec_lo, s2
	s_mov_b32 s2, exec_lo
	s_barrier
	buffer_gl0_inv
	ds_store_b32 v4, v2
	s_waitcnt lgkmcnt(0)
	s_barrier
	buffer_gl0_inv
	v_cmpx_lt_u32_e32 31, v0
	s_cbranch_execz .LBB46_29
; %bb.26:
	v_add_nc_u32_e32 v5, 0xffffff80, v1
	s_mov_b32 s3, exec_lo
	ds_load_b32 v5, v5
	s_waitcnt lgkmcnt(0)
	v_cmpx_eq_u32_e64 v3, v5
	s_cbranch_execz .LBB46_28
; %bb.27:
	v_add_nc_u32_e32 v5, 0xffffff80, v4
	ds_load_b32 v5, v5
	s_waitcnt lgkmcnt(0)
	v_add_f32_e32 v2, v2, v5
.LBB46_28:
	s_or_b32 exec_lo, exec_lo, s3
.LBB46_29:
	s_delay_alu instid0(SALU_CYCLE_1) | instskip(NEXT) | instid1(SALU_CYCLE_1)
	s_or_b32 exec_lo, exec_lo, s2
	s_mov_b32 s2, exec_lo
	s_barrier
	buffer_gl0_inv
	ds_store_b32 v4, v2
	s_waitcnt lgkmcnt(0)
	s_barrier
	buffer_gl0_inv
	v_cmpx_lt_u32_e32 63, v0
	s_cbranch_execz .LBB46_33
; %bb.30:
	v_add_nc_u32_e32 v5, 0xffffff00, v1
	s_mov_b32 s3, exec_lo
	ds_load_b32 v5, v5
	s_waitcnt lgkmcnt(0)
	v_cmpx_eq_u32_e64 v3, v5
	s_cbranch_execz .LBB46_32
; %bb.31:
	v_add_nc_u32_e32 v5, 0xffffff00, v4
	ds_load_b32 v5, v5
	s_waitcnt lgkmcnt(0)
	v_add_f32_e32 v2, v2, v5
.LBB46_32:
	s_or_b32 exec_lo, exec_lo, s3
.LBB46_33:
	s_delay_alu instid0(SALU_CYCLE_1)
	s_or_b32 exec_lo, exec_lo, s2
	s_load_b64 s[2:3], s[0:1], 0x28
	s_mov_b32 s0, exec_lo
	s_waitcnt lgkmcnt(0)
	s_barrier
	buffer_gl0_inv
	ds_store_b32 v4, v2
	s_waitcnt lgkmcnt(0)
	s_barrier
	buffer_gl0_inv
	v_cmpx_lt_u32_e32 0x7f, v0
	s_cbranch_execz .LBB46_37
; %bb.34:
	v_add_nc_u32_e32 v5, 0xfffffe00, v1
	s_mov_b32 s1, exec_lo
	ds_load_b32 v5, v5
	s_waitcnt lgkmcnt(0)
	v_cmpx_eq_u32_e64 v3, v5
	s_cbranch_execz .LBB46_36
; %bb.35:
	v_add_nc_u32_e32 v5, 0xfffffe00, v4
	ds_load_b32 v5, v5
	s_waitcnt lgkmcnt(0)
	v_add_f32_e32 v2, v2, v5
.LBB46_36:
	s_or_b32 exec_lo, exec_lo, s1
.LBB46_37:
	s_delay_alu instid0(SALU_CYCLE_1) | instskip(NEXT) | instid1(SALU_CYCLE_1)
	s_or_b32 exec_lo, exec_lo, s0
	s_mov_b32 s1, exec_lo
	s_barrier
	buffer_gl0_inv
	ds_store_b32 v4, v2
	s_waitcnt lgkmcnt(0)
	s_barrier
	buffer_gl0_inv
	v_cmpx_gt_u32_e32 0xff, v0
	s_cbranch_execz .LBB46_41
; %bb.38:
	ds_load_b32 v1, v1 offset:4
	v_cmp_lt_i32_e64 s0, -1, v3
	s_waitcnt lgkmcnt(0)
	v_cmp_ne_u32_e32 vcc_lo, v3, v1
	s_delay_alu instid0(VALU_DEP_2) | instskip(NEXT) | instid1(SALU_CYCLE_1)
	s_and_b32 s0, s0, vcc_lo
	s_and_b32 exec_lo, exec_lo, s0
	s_cbranch_execz .LBB46_41
; %bb.39:
	v_dual_mov_b32 v4, 0 :: v_dual_mul_f32 v1, s6, v2
	s_mov_b32 s0, 0
	s_delay_alu instid0(VALU_DEP_1) | instskip(NEXT) | instid1(VALU_DEP_1)
	v_lshlrev_b64 v[4:5], 2, v[3:4]
	v_add_co_u32 v4, vcc_lo, s2, v4
	s_delay_alu instid0(VALU_DEP_2)
	v_add_co_ci_u32_e32 v5, vcc_lo, s3, v5, vcc_lo
	global_load_b32 v7, v[4:5], off
.LBB46_40:                              ; =>This Inner Loop Header: Depth=1
	s_waitcnt vmcnt(0)
	v_add_f32_e32 v6, v7, v1
	global_atomic_cmpswap_b32 v6, v[4:5], v[6:7], off glc
	s_waitcnt vmcnt(0)
	v_cmp_eq_u32_e32 vcc_lo, v6, v7
	v_mov_b32_e32 v7, v6
	s_or_b32 s0, vcc_lo, s0
	s_delay_alu instid0(SALU_CYCLE_1)
	s_and_not1_b32 exec_lo, exec_lo, s0
	s_cbranch_execnz .LBB46_40
.LBB46_41:
	s_or_b32 exec_lo, exec_lo, s1
	v_cmp_eq_u32_e32 vcc_lo, 0xff, v0
	v_cmp_lt_i32_e64 s0, -1, v3
	s_delay_alu instid0(VALU_DEP_1) | instskip(NEXT) | instid1(SALU_CYCLE_1)
	s_and_b32 s0, vcc_lo, s0
	s_and_saveexec_b32 s1, s0
	s_cbranch_execz .LBB46_44
; %bb.42:
	v_mov_b32_e32 v4, 0
	s_mov_b32 s0, 0
	s_delay_alu instid0(VALU_DEP_1) | instskip(SKIP_1) | instid1(VALU_DEP_2)
	v_lshlrev_b64 v[0:1], 2, v[3:4]
	v_mul_f32_e32 v4, s6, v2
	v_add_co_u32 v0, vcc_lo, s2, v0
	s_delay_alu instid0(VALU_DEP_3)
	v_add_co_ci_u32_e32 v1, vcc_lo, s3, v1, vcc_lo
	global_load_b32 v3, v[0:1], off
.LBB46_43:                              ; =>This Inner Loop Header: Depth=1
	s_waitcnt vmcnt(0)
	v_add_f32_e32 v2, v3, v4
	global_atomic_cmpswap_b32 v2, v[0:1], v[2:3], off glc
	s_waitcnt vmcnt(0)
	v_cmp_eq_u32_e32 vcc_lo, v2, v3
	v_mov_b32_e32 v3, v2
	s_or_b32 s0, vcc_lo, s0
	s_delay_alu instid0(SALU_CYCLE_1)
	s_and_not1_b32 exec_lo, exec_lo, s0
	s_cbranch_execnz .LBB46_43
.LBB46_44:
	s_endpgm
	.section	.rodata,"a",@progbits
	.p2align	6, 0x0
	.amdhsa_kernel _ZN9rocsparseL23coomvn_aos_atomic_loopsILj256ELj1EiDF16_DF16_ffEEvlNS_24const_host_device_scalarIT5_EEPKT1_PKT2_PKT3_PT4_21rocsparse_index_base_b
		.amdhsa_group_segment_fixed_size 2048
		.amdhsa_private_segment_fixed_size 0
		.amdhsa_kernarg_size 56
		.amdhsa_user_sgpr_count 15
		.amdhsa_user_sgpr_dispatch_ptr 0
		.amdhsa_user_sgpr_queue_ptr 0
		.amdhsa_user_sgpr_kernarg_segment_ptr 1
		.amdhsa_user_sgpr_dispatch_id 0
		.amdhsa_user_sgpr_private_segment_size 0
		.amdhsa_wavefront_size32 1
		.amdhsa_uses_dynamic_stack 0
		.amdhsa_enable_private_segment 0
		.amdhsa_system_sgpr_workgroup_id_x 1
		.amdhsa_system_sgpr_workgroup_id_y 0
		.amdhsa_system_sgpr_workgroup_id_z 0
		.amdhsa_system_sgpr_workgroup_info 0
		.amdhsa_system_vgpr_workitem_id 0
		.amdhsa_next_free_vgpr 8
		.amdhsa_next_free_sgpr 16
		.amdhsa_reserve_vcc 1
		.amdhsa_float_round_mode_32 0
		.amdhsa_float_round_mode_16_64 0
		.amdhsa_float_denorm_mode_32 3
		.amdhsa_float_denorm_mode_16_64 3
		.amdhsa_dx10_clamp 1
		.amdhsa_ieee_mode 1
		.amdhsa_fp16_overflow 0
		.amdhsa_workgroup_processor_mode 1
		.amdhsa_memory_ordered 1
		.amdhsa_forward_progress 0
		.amdhsa_shared_vgpr_count 0
		.amdhsa_exception_fp_ieee_invalid_op 0
		.amdhsa_exception_fp_denorm_src 0
		.amdhsa_exception_fp_ieee_div_zero 0
		.amdhsa_exception_fp_ieee_overflow 0
		.amdhsa_exception_fp_ieee_underflow 0
		.amdhsa_exception_fp_ieee_inexact 0
		.amdhsa_exception_int_div_zero 0
	.end_amdhsa_kernel
	.section	.text._ZN9rocsparseL23coomvn_aos_atomic_loopsILj256ELj1EiDF16_DF16_ffEEvlNS_24const_host_device_scalarIT5_EEPKT1_PKT2_PKT3_PT4_21rocsparse_index_base_b,"axG",@progbits,_ZN9rocsparseL23coomvn_aos_atomic_loopsILj256ELj1EiDF16_DF16_ffEEvlNS_24const_host_device_scalarIT5_EEPKT1_PKT2_PKT3_PT4_21rocsparse_index_base_b,comdat
.Lfunc_end46:
	.size	_ZN9rocsparseL23coomvn_aos_atomic_loopsILj256ELj1EiDF16_DF16_ffEEvlNS_24const_host_device_scalarIT5_EEPKT1_PKT2_PKT3_PT4_21rocsparse_index_base_b, .Lfunc_end46-_ZN9rocsparseL23coomvn_aos_atomic_loopsILj256ELj1EiDF16_DF16_ffEEvlNS_24const_host_device_scalarIT5_EEPKT1_PKT2_PKT3_PT4_21rocsparse_index_base_b
                                        ; -- End function
	.section	.AMDGPU.csdata,"",@progbits
; Kernel info:
; codeLenInByte = 1536
; NumSgprs: 18
; NumVgprs: 8
; ScratchSize: 0
; MemoryBound: 0
; FloatMode: 240
; IeeeMode: 1
; LDSByteSize: 2048 bytes/workgroup (compile time only)
; SGPRBlocks: 2
; VGPRBlocks: 0
; NumSGPRsForWavesPerEU: 18
; NumVGPRsForWavesPerEU: 8
; Occupancy: 16
; WaveLimiterHint : 1
; COMPUTE_PGM_RSRC2:SCRATCH_EN: 0
; COMPUTE_PGM_RSRC2:USER_SGPR: 15
; COMPUTE_PGM_RSRC2:TRAP_HANDLER: 0
; COMPUTE_PGM_RSRC2:TGID_X_EN: 1
; COMPUTE_PGM_RSRC2:TGID_Y_EN: 0
; COMPUTE_PGM_RSRC2:TGID_Z_EN: 0
; COMPUTE_PGM_RSRC2:TIDIG_COMP_CNT: 0
	.section	.text._ZN9rocsparseL17coomvt_aos_kernelILj1024EiDF16_DF16_ffEEv20rocsparse_operation_lNS_24const_host_device_scalarIT4_EEPKT0_PKT1_PKT2_PT3_21rocsparse_index_base_b,"axG",@progbits,_ZN9rocsparseL17coomvt_aos_kernelILj1024EiDF16_DF16_ffEEv20rocsparse_operation_lNS_24const_host_device_scalarIT4_EEPKT0_PKT1_PKT2_PT3_21rocsparse_index_base_b,comdat
	.globl	_ZN9rocsparseL17coomvt_aos_kernelILj1024EiDF16_DF16_ffEEv20rocsparse_operation_lNS_24const_host_device_scalarIT4_EEPKT0_PKT1_PKT2_PT3_21rocsparse_index_base_b ; -- Begin function _ZN9rocsparseL17coomvt_aos_kernelILj1024EiDF16_DF16_ffEEv20rocsparse_operation_lNS_24const_host_device_scalarIT4_EEPKT0_PKT1_PKT2_PT3_21rocsparse_index_base_b
	.p2align	8
	.type	_ZN9rocsparseL17coomvt_aos_kernelILj1024EiDF16_DF16_ffEEv20rocsparse_operation_lNS_24const_host_device_scalarIT4_EEPKT0_PKT1_PKT2_PT3_21rocsparse_index_base_b,@function
_ZN9rocsparseL17coomvt_aos_kernelILj1024EiDF16_DF16_ffEEv20rocsparse_operation_lNS_24const_host_device_scalarIT4_EEPKT0_PKT1_PKT2_PT3_21rocsparse_index_base_b: ; @_ZN9rocsparseL17coomvt_aos_kernelILj1024EiDF16_DF16_ffEEv20rocsparse_operation_lNS_24const_host_device_scalarIT4_EEPKT0_PKT1_PKT2_PT3_21rocsparse_index_base_b
; %bb.0:
	s_clause 0x1
	s_load_b64 s[12:13], s[0:1], 0x38
	s_load_b128 s[8:11], s[0:1], 0x8
	s_waitcnt lgkmcnt(0)
	s_bitcmp1_b32 s13, 0
	s_cselect_b32 s2, -1, 0
	s_delay_alu instid0(SALU_CYCLE_1)
	s_and_b32 vcc_lo, exec_lo, s2
	s_cbranch_vccnz .LBB47_2
; %bb.1:
	s_load_b32 s10, s[10:11], 0x0
.LBB47_2:
	s_waitcnt lgkmcnt(0)
	v_cmp_eq_f32_e64 s2, s10, 0
	s_delay_alu instid0(VALU_DEP_1)
	s_and_b32 vcc_lo, exec_lo, s2
	s_cbranch_vccnz .LBB47_6
; %bb.3:
	s_load_b32 s2, s[0:1], 0x4c
	s_waitcnt lgkmcnt(0)
	s_and_b32 s2, s2, 0xffff
	s_delay_alu instid0(SALU_CYCLE_1) | instskip(SKIP_2) | instid1(VALU_DEP_1)
	v_mad_u64_u32 v[1:2], null, s15, s2, v[0:1]
	v_mov_b32_e32 v2, 0
	s_mov_b32 s2, exec_lo
	v_cmpx_gt_i64_e64 s[8:9], v[1:2]
	s_cbranch_execz .LBB47_6
; %bb.4:
	s_load_b256 s[0:7], s[0:1], 0x18
	v_lshlrev_b64 v[3:4], 3, v[1:2]
	s_waitcnt lgkmcnt(0)
	s_delay_alu instid0(VALU_DEP_1) | instskip(NEXT) | instid1(VALU_DEP_2)
	v_add_co_u32 v3, vcc_lo, s0, v3
	v_add_co_ci_u32_e32 v4, vcc_lo, s1, v4, vcc_lo
	s_mov_b32 s0, 0
	global_load_b64 v[3:4], v[3:4], off
	s_waitcnt vmcnt(0)
	v_subrev_nc_u32_e32 v0, s12, v3
	v_lshlrev_b64 v[2:3], 1, v[1:2]
	v_subrev_nc_u32_e32 v4, s12, v4
	s_delay_alu instid0(VALU_DEP_3) | instskip(NEXT) | instid1(VALU_DEP_3)
	v_ashrrev_i32_e32 v1, 31, v0
	v_add_co_u32 v2, vcc_lo, s2, v2
	s_delay_alu instid0(VALU_DEP_4) | instskip(NEXT) | instid1(VALU_DEP_3)
	v_add_co_ci_u32_e32 v3, vcc_lo, s3, v3, vcc_lo
	v_lshlrev_b64 v[0:1], 1, v[0:1]
	v_ashrrev_i32_e32 v5, 31, v4
	global_load_u16 v6, v[2:3], off
	v_lshlrev_b64 v[2:3], 2, v[4:5]
	v_add_co_u32 v0, vcc_lo, s4, v0
	v_add_co_ci_u32_e32 v1, vcc_lo, s5, v1, vcc_lo
	global_load_u16 v4, v[0:1], off
	v_add_co_u32 v0, vcc_lo, s6, v2
	v_add_co_ci_u32_e32 v1, vcc_lo, s7, v3, vcc_lo
	global_load_b32 v3, v[0:1], off
	s_waitcnt vmcnt(2)
	v_cvt_f32_f16_e32 v2, v6
	s_delay_alu instid0(VALU_DEP_1) | instskip(SKIP_2) | instid1(VALU_DEP_1)
	v_mul_f32_e32 v2, s10, v2
	s_waitcnt vmcnt(1)
	v_cvt_f32_f16_e32 v4, v4
	v_mul_f32_e32 v4, v2, v4
.LBB47_5:                               ; =>This Inner Loop Header: Depth=1
	s_waitcnt vmcnt(0)
	s_delay_alu instid0(VALU_DEP_1)
	v_add_f32_e32 v2, v3, v4
	global_atomic_cmpswap_b32 v2, v[0:1], v[2:3], off glc
	s_waitcnt vmcnt(0)
	v_cmp_eq_u32_e32 vcc_lo, v2, v3
	v_mov_b32_e32 v3, v2
	s_or_b32 s0, vcc_lo, s0
	s_delay_alu instid0(SALU_CYCLE_1)
	s_and_not1_b32 exec_lo, exec_lo, s0
	s_cbranch_execnz .LBB47_5
.LBB47_6:
	s_endpgm
	.section	.rodata,"a",@progbits
	.p2align	6, 0x0
	.amdhsa_kernel _ZN9rocsparseL17coomvt_aos_kernelILj1024EiDF16_DF16_ffEEv20rocsparse_operation_lNS_24const_host_device_scalarIT4_EEPKT0_PKT1_PKT2_PT3_21rocsparse_index_base_b
		.amdhsa_group_segment_fixed_size 0
		.amdhsa_private_segment_fixed_size 0
		.amdhsa_kernarg_size 320
		.amdhsa_user_sgpr_count 15
		.amdhsa_user_sgpr_dispatch_ptr 0
		.amdhsa_user_sgpr_queue_ptr 0
		.amdhsa_user_sgpr_kernarg_segment_ptr 1
		.amdhsa_user_sgpr_dispatch_id 0
		.amdhsa_user_sgpr_private_segment_size 0
		.amdhsa_wavefront_size32 1
		.amdhsa_uses_dynamic_stack 0
		.amdhsa_enable_private_segment 0
		.amdhsa_system_sgpr_workgroup_id_x 1
		.amdhsa_system_sgpr_workgroup_id_y 0
		.amdhsa_system_sgpr_workgroup_id_z 0
		.amdhsa_system_sgpr_workgroup_info 0
		.amdhsa_system_vgpr_workitem_id 0
		.amdhsa_next_free_vgpr 7
		.amdhsa_next_free_sgpr 16
		.amdhsa_reserve_vcc 1
		.amdhsa_float_round_mode_32 0
		.amdhsa_float_round_mode_16_64 0
		.amdhsa_float_denorm_mode_32 3
		.amdhsa_float_denorm_mode_16_64 3
		.amdhsa_dx10_clamp 1
		.amdhsa_ieee_mode 1
		.amdhsa_fp16_overflow 0
		.amdhsa_workgroup_processor_mode 1
		.amdhsa_memory_ordered 1
		.amdhsa_forward_progress 0
		.amdhsa_shared_vgpr_count 0
		.amdhsa_exception_fp_ieee_invalid_op 0
		.amdhsa_exception_fp_denorm_src 0
		.amdhsa_exception_fp_ieee_div_zero 0
		.amdhsa_exception_fp_ieee_overflow 0
		.amdhsa_exception_fp_ieee_underflow 0
		.amdhsa_exception_fp_ieee_inexact 0
		.amdhsa_exception_int_div_zero 0
	.end_amdhsa_kernel
	.section	.text._ZN9rocsparseL17coomvt_aos_kernelILj1024EiDF16_DF16_ffEEv20rocsparse_operation_lNS_24const_host_device_scalarIT4_EEPKT0_PKT1_PKT2_PT3_21rocsparse_index_base_b,"axG",@progbits,_ZN9rocsparseL17coomvt_aos_kernelILj1024EiDF16_DF16_ffEEv20rocsparse_operation_lNS_24const_host_device_scalarIT4_EEPKT0_PKT1_PKT2_PT3_21rocsparse_index_base_b,comdat
.Lfunc_end47:
	.size	_ZN9rocsparseL17coomvt_aos_kernelILj1024EiDF16_DF16_ffEEv20rocsparse_operation_lNS_24const_host_device_scalarIT4_EEPKT0_PKT1_PKT2_PT3_21rocsparse_index_base_b, .Lfunc_end47-_ZN9rocsparseL17coomvt_aos_kernelILj1024EiDF16_DF16_ffEEv20rocsparse_operation_lNS_24const_host_device_scalarIT4_EEPKT0_PKT1_PKT2_PT3_21rocsparse_index_base_b
                                        ; -- End function
	.section	.AMDGPU.csdata,"",@progbits
; Kernel info:
; codeLenInByte = 368
; NumSgprs: 18
; NumVgprs: 7
; ScratchSize: 0
; MemoryBound: 0
; FloatMode: 240
; IeeeMode: 1
; LDSByteSize: 0 bytes/workgroup (compile time only)
; SGPRBlocks: 2
; VGPRBlocks: 0
; NumSGPRsForWavesPerEU: 18
; NumVGPRsForWavesPerEU: 7
; Occupancy: 16
; WaveLimiterHint : 1
; COMPUTE_PGM_RSRC2:SCRATCH_EN: 0
; COMPUTE_PGM_RSRC2:USER_SGPR: 15
; COMPUTE_PGM_RSRC2:TRAP_HANDLER: 0
; COMPUTE_PGM_RSRC2:TGID_X_EN: 1
; COMPUTE_PGM_RSRC2:TGID_Y_EN: 0
; COMPUTE_PGM_RSRC2:TGID_Z_EN: 0
; COMPUTE_PGM_RSRC2:TIDIG_COMP_CNT: 0
	.section	.text._ZN9rocsparseL26coomvn_aos_segmented_loopsILj256EiDF16_DF16_ffEEvlT0_NS_24const_host_device_scalarIT4_EEPKS1_PKT1_PKT2_PT3_PS1_PS3_21rocsparse_index_base_b,"axG",@progbits,_ZN9rocsparseL26coomvn_aos_segmented_loopsILj256EiDF16_DF16_ffEEvlT0_NS_24const_host_device_scalarIT4_EEPKS1_PKT1_PKT2_PT3_PS1_PS3_21rocsparse_index_base_b,comdat
	.globl	_ZN9rocsparseL26coomvn_aos_segmented_loopsILj256EiDF16_DF16_ffEEvlT0_NS_24const_host_device_scalarIT4_EEPKS1_PKT1_PKT2_PT3_PS1_PS3_21rocsparse_index_base_b ; -- Begin function _ZN9rocsparseL26coomvn_aos_segmented_loopsILj256EiDF16_DF16_ffEEvlT0_NS_24const_host_device_scalarIT4_EEPKS1_PKT1_PKT2_PT3_PS1_PS3_21rocsparse_index_base_b
	.p2align	8
	.type	_ZN9rocsparseL26coomvn_aos_segmented_loopsILj256EiDF16_DF16_ffEEvlT0_NS_24const_host_device_scalarIT4_EEPKS1_PKT1_PKT2_PT3_PS1_PS3_21rocsparse_index_base_b,@function
_ZN9rocsparseL26coomvn_aos_segmented_loopsILj256EiDF16_DF16_ffEEvlT0_NS_24const_host_device_scalarIT4_EEPKS1_PKT1_PKT2_PT3_PS1_PS3_21rocsparse_index_base_b: ; @_ZN9rocsparseL26coomvn_aos_segmented_loopsILj256EiDF16_DF16_ffEEvlT0_NS_24const_host_device_scalarIT4_EEPKS1_PKT1_PKT2_PT3_PS1_PS3_21rocsparse_index_base_b
; %bb.0:
	s_clause 0x1
	s_load_b64 s[24:25], s[0:1], 0x48
	s_load_b64 s[20:21], s[0:1], 0x10
	s_mov_b32 s22, s15
	s_waitcnt lgkmcnt(0)
	s_bitcmp1_b32 s25, 0
	s_cselect_b32 s2, -1, 0
	s_delay_alu instid0(SALU_CYCLE_1)
	s_and_b32 vcc_lo, exec_lo, s2
	s_cbranch_vccnz .LBB48_2
; %bb.1:
	s_load_b32 s20, s[20:21], 0x0
.LBB48_2:
	s_waitcnt lgkmcnt(0)
	v_cmp_eq_f32_e64 s2, s20, 0
	s_delay_alu instid0(VALU_DEP_1)
	s_and_b32 vcc_lo, exec_lo, s2
	s_cbranch_vccnz .LBB48_89
; %bb.3:
	s_clause 0x3
	s_load_b32 s21, s[0:1], 0x8
	s_load_b64 s[26:27], s[0:1], 0x0
	s_load_b128 s[16:19], s[0:1], 0x18
	s_load_b64 s[30:31], s[0:1], 0x28
	v_dual_mov_b32 v2, 0 :: v_dual_mov_b32 v3, -1
	s_waitcnt lgkmcnt(0)
	s_mul_i32 s2, s22, s21
	s_delay_alu instid0(SALU_CYCLE_1) | instskip(SKIP_1) | instid1(VALU_DEP_1)
	v_lshl_or_b32 v1, s2, 8, v0
	s_mov_b32 s2, exec_lo
	v_lshlrev_b64 v[5:6], 3, v[1:2]
	v_lshlrev_b64 v[7:8], 1, v[1:2]
	v_cmpx_gt_i64_e64 s[26:27], v[1:2]
	s_cbranch_execz .LBB48_5
; %bb.4:
	s_delay_alu instid0(VALU_DEP_3) | instskip(NEXT) | instid1(VALU_DEP_4)
	v_add_co_u32 v2, vcc_lo, s16, v5
	v_add_co_ci_u32_e32 v3, vcc_lo, s17, v6, vcc_lo
	s_delay_alu instid0(VALU_DEP_4) | instskip(SKIP_3) | instid1(SALU_CYCLE_1)
	v_add_co_u32 v9, vcc_lo, s18, v7
	v_add_co_ci_u32_e32 v10, vcc_lo, s19, v8, vcc_lo
	global_load_b64 v[2:3], v[2:3], off slc dlc
	s_ashr_i32 s25, s24, 31
	s_lshl_b64 s[4:5], s[24:25], 1
	s_waitcnt vmcnt(0)
	v_ashrrev_i32_e32 v4, 31, v3
	s_delay_alu instid0(VALU_DEP_1) | instskip(NEXT) | instid1(VALU_DEP_1)
	v_lshlrev_b64 v[3:4], 1, v[3:4]
	v_add_co_u32 v3, vcc_lo, s30, v3
	s_delay_alu instid0(VALU_DEP_2) | instskip(NEXT) | instid1(VALU_DEP_2)
	v_add_co_ci_u32_e32 v4, vcc_lo, s31, v4, vcc_lo
	v_sub_co_u32 v3, vcc_lo, v3, s4
	s_delay_alu instid0(VALU_DEP_2)
	v_subrev_co_ci_u32_e32 v4, vcc_lo, s5, v4, vcc_lo
	global_load_u16 v9, v[9:10], off
	global_load_u16 v3, v[3:4], off
	s_waitcnt vmcnt(1)
	v_cvt_f32_f16_e32 v4, v9
	s_waitcnt vmcnt(0)
	v_cvt_f32_f16_e32 v9, v3
	v_subrev_nc_u32_e32 v3, s24, v2
	s_delay_alu instid0(VALU_DEP_2)
	v_mul_f32_e32 v2, v4, v9
.LBB48_5:
	s_or_b32 exec_lo, exec_lo, s2
	v_lshlrev_b32_e32 v11, 2, v0
	v_cmp_eq_u32_e32 vcc_lo, 0, v0
	v_cmp_ne_u32_e64 s2, 0, v0
	s_delay_alu instid0(VALU_DEP_3)
	v_or_b32_e32 v12, 0x400, v11
	v_add_nc_u32_e32 v13, -4, v11
	ds_store_2addr_stride64_b32 v11, v3, v2 offset1:4
	s_waitcnt lgkmcnt(0)
	s_barrier
	buffer_gl0_inv
	s_and_saveexec_b32 s4, s2
	s_cbranch_execz .LBB48_9
; %bb.6:
	ds_load_b32 v4, v13
	s_mov_b32 s5, exec_lo
	s_waitcnt lgkmcnt(0)
	v_cmpx_eq_u32_e64 v3, v4
	s_cbranch_execz .LBB48_8
; %bb.7:
	v_add_nc_u32_e32 v4, -4, v12
	ds_load_b32 v4, v4
	s_waitcnt lgkmcnt(0)
	v_add_f32_e32 v2, v2, v4
.LBB48_8:
	s_or_b32 exec_lo, exec_lo, s5
.LBB48_9:
	s_delay_alu instid0(SALU_CYCLE_1)
	s_or_b32 exec_lo, exec_lo, s4
	v_cmp_lt_u32_e64 s3, 1, v0
	v_add_nc_u32_e32 v14, -8, v11
	s_barrier
	buffer_gl0_inv
	ds_store_b32 v12, v2
	s_waitcnt lgkmcnt(0)
	s_barrier
	buffer_gl0_inv
	s_and_saveexec_b32 s5, s3
	s_cbranch_execz .LBB48_13
; %bb.10:
	ds_load_b32 v4, v14
	s_mov_b32 s6, exec_lo
	s_waitcnt lgkmcnt(0)
	v_cmpx_eq_u32_e64 v3, v4
	s_cbranch_execz .LBB48_12
; %bb.11:
	v_add_nc_u32_e32 v4, -8, v12
	ds_load_b32 v4, v4
	s_waitcnt lgkmcnt(0)
	v_add_f32_e32 v2, v2, v4
.LBB48_12:
	s_or_b32 exec_lo, exec_lo, s6
.LBB48_13:
	s_delay_alu instid0(SALU_CYCLE_1)
	s_or_b32 exec_lo, exec_lo, s5
	v_cmp_lt_u32_e64 s4, 3, v0
	v_add_nc_u32_e32 v15, -16, v11
	s_barrier
	buffer_gl0_inv
	ds_store_b32 v12, v2
	s_waitcnt lgkmcnt(0)
	s_barrier
	buffer_gl0_inv
	s_and_saveexec_b32 s6, s4
	s_cbranch_execz .LBB48_17
; %bb.14:
	ds_load_b32 v4, v15
	s_mov_b32 s7, exec_lo
	s_waitcnt lgkmcnt(0)
	v_cmpx_eq_u32_e64 v3, v4
	s_cbranch_execz .LBB48_16
; %bb.15:
	v_add_nc_u32_e32 v4, -16, v12
	ds_load_b32 v4, v4
	s_waitcnt lgkmcnt(0)
	v_add_f32_e32 v2, v2, v4
.LBB48_16:
	s_or_b32 exec_lo, exec_lo, s7
.LBB48_17:
	s_delay_alu instid0(SALU_CYCLE_1)
	s_or_b32 exec_lo, exec_lo, s6
	v_cmp_lt_u32_e64 s5, 7, v0
	v_subrev_nc_u32_e32 v16, 32, v11
	s_barrier
	buffer_gl0_inv
	ds_store_b32 v12, v2
	s_waitcnt lgkmcnt(0)
	s_barrier
	buffer_gl0_inv
	s_and_saveexec_b32 s7, s5
	s_cbranch_execz .LBB48_21
; %bb.18:
	ds_load_b32 v4, v16
	s_mov_b32 s8, exec_lo
	s_waitcnt lgkmcnt(0)
	v_cmpx_eq_u32_e64 v3, v4
	s_cbranch_execz .LBB48_20
; %bb.19:
	v_subrev_nc_u32_e32 v4, 32, v12
	ds_load_b32 v4, v4
	s_waitcnt lgkmcnt(0)
	v_add_f32_e32 v2, v2, v4
.LBB48_20:
	s_or_b32 exec_lo, exec_lo, s8
.LBB48_21:
	s_delay_alu instid0(SALU_CYCLE_1)
	s_or_b32 exec_lo, exec_lo, s7
	v_cmp_lt_u32_e64 s6, 15, v0
	v_subrev_nc_u32_e32 v17, 64, v11
	s_barrier
	buffer_gl0_inv
	ds_store_b32 v12, v2
	s_waitcnt lgkmcnt(0)
	s_barrier
	buffer_gl0_inv
	s_and_saveexec_b32 s8, s6
	s_cbranch_execz .LBB48_25
; %bb.22:
	ds_load_b32 v4, v17
	s_mov_b32 s9, exec_lo
	s_waitcnt lgkmcnt(0)
	v_cmpx_eq_u32_e64 v3, v4
	s_cbranch_execz .LBB48_24
; %bb.23:
	v_subrev_nc_u32_e32 v4, 64, v12
	ds_load_b32 v4, v4
	s_waitcnt lgkmcnt(0)
	v_add_f32_e32 v2, v2, v4
.LBB48_24:
	s_or_b32 exec_lo, exec_lo, s9
.LBB48_25:
	s_delay_alu instid0(SALU_CYCLE_1)
	s_or_b32 exec_lo, exec_lo, s8
	v_cmp_lt_u32_e64 s7, 31, v0
	v_add_nc_u32_e32 v18, 0xffffff80, v11
	s_barrier
	buffer_gl0_inv
	ds_store_b32 v12, v2
	s_waitcnt lgkmcnt(0)
	s_barrier
	buffer_gl0_inv
	s_and_saveexec_b32 s9, s7
	s_cbranch_execz .LBB48_29
; %bb.26:
	ds_load_b32 v4, v18
	s_mov_b32 s10, exec_lo
	s_waitcnt lgkmcnt(0)
	v_cmpx_eq_u32_e64 v3, v4
	s_cbranch_execz .LBB48_28
; %bb.27:
	v_add_nc_u32_e32 v4, 0xffffff80, v12
	ds_load_b32 v4, v4
	s_waitcnt lgkmcnt(0)
	v_add_f32_e32 v2, v2, v4
.LBB48_28:
	s_or_b32 exec_lo, exec_lo, s10
.LBB48_29:
	s_delay_alu instid0(SALU_CYCLE_1)
	s_or_b32 exec_lo, exec_lo, s9
	v_cmp_lt_u32_e64 s8, 63, v0
	v_add_nc_u32_e32 v19, 0xffffff00, v11
	s_barrier
	buffer_gl0_inv
	ds_store_b32 v12, v2
	s_waitcnt lgkmcnt(0)
	s_barrier
	buffer_gl0_inv
	s_and_saveexec_b32 s10, s8
	s_cbranch_execz .LBB48_33
; %bb.30:
	ds_load_b32 v4, v19
	s_mov_b32 s11, exec_lo
	s_waitcnt lgkmcnt(0)
	v_cmpx_eq_u32_e64 v3, v4
	s_cbranch_execz .LBB48_32
; %bb.31:
	v_add_nc_u32_e32 v4, 0xffffff00, v12
	ds_load_b32 v4, v4
	s_waitcnt lgkmcnt(0)
	v_add_f32_e32 v2, v2, v4
.LBB48_32:
	s_or_b32 exec_lo, exec_lo, s11
.LBB48_33:
	s_delay_alu instid0(SALU_CYCLE_1)
	s_or_b32 exec_lo, exec_lo, s10
	s_load_b64 s[28:29], s[0:1], 0x30
	v_cmp_lt_u32_e64 s9, 0x7f, v0
	v_add_nc_u32_e32 v20, 0xfffffe00, v11
	s_waitcnt lgkmcnt(0)
	s_barrier
	buffer_gl0_inv
	ds_store_b32 v12, v2
	s_waitcnt lgkmcnt(0)
	s_barrier
	buffer_gl0_inv
	s_and_saveexec_b32 s11, s9
	s_cbranch_execz .LBB48_37
; %bb.34:
	ds_load_b32 v4, v20
	s_mov_b32 s12, exec_lo
	s_waitcnt lgkmcnt(0)
	v_cmpx_eq_u32_e64 v3, v4
	s_cbranch_execz .LBB48_36
; %bb.35:
	v_add_nc_u32_e32 v4, 0xfffffe00, v12
	ds_load_b32 v4, v4
	s_waitcnt lgkmcnt(0)
	v_add_f32_e32 v2, v2, v4
.LBB48_36:
	s_or_b32 exec_lo, exec_lo, s12
.LBB48_37:
	s_delay_alu instid0(SALU_CYCLE_1)
	s_or_b32 exec_lo, exec_lo, s11
	v_cmp_gt_u32_e64 s10, 0xff, v0
	s_barrier
	buffer_gl0_inv
	ds_store_b32 v12, v2
	s_waitcnt lgkmcnt(0)
	s_barrier
	buffer_gl0_inv
	s_and_saveexec_b32 s13, s10
	s_cbranch_execz .LBB48_40
; %bb.38:
	ds_load_b32 v4, v11 offset:4
	v_cmp_lt_i32_e64 s12, -1, v3
	s_waitcnt lgkmcnt(0)
	v_cmp_ne_u32_e64 s11, v3, v4
	s_delay_alu instid0(VALU_DEP_1) | instskip(NEXT) | instid1(SALU_CYCLE_1)
	s_and_b32 s11, s12, s11
	s_and_b32 exec_lo, exec_lo, s11
	s_cbranch_execz .LBB48_40
; %bb.39:
	v_mov_b32_e32 v4, 0
	s_delay_alu instid0(VALU_DEP_1) | instskip(NEXT) | instid1(VALU_DEP_1)
	v_lshlrev_b64 v[9:10], 2, v[3:4]
	v_add_co_u32 v9, s11, s28, v9
	s_delay_alu instid0(VALU_DEP_1)
	v_add_co_ci_u32_e64 v10, s11, s29, v10, s11
	global_load_b32 v4, v[9:10], off
	s_waitcnt vmcnt(0)
	v_fmac_f32_e32 v4, s20, v2
	global_store_b32 v[9:10], v4, off
.LBB48_40:
	s_or_b32 exec_lo, exec_lo, s13
	s_load_b128 s[12:15], s[0:1], 0x38
	s_cmp_lt_i32 s21, 2
	s_cbranch_scc1 .LBB48_87
; %bb.41:
	s_ashr_i32 s25, s24, 31
	v_add_nc_u32_e32 v21, -4, v12
	s_lshl_b64 s[0:1], s[24:25], 1
	v_add_nc_u32_e32 v22, -8, v12
	s_sub_u32 s11, s30, s0
	v_add_co_u32 v2, s0, v7, s18
	s_delay_alu instid0(VALU_DEP_1) | instskip(SKIP_1) | instid1(VALU_DEP_1)
	v_add_co_ci_u32_e64 v3, s0, s19, v8, s0
	v_add_co_u32 v4, s0, v5, s16
	v_add_co_ci_u32_e64 v8, s0, s17, v6, s0
	s_delay_alu instid0(VALU_DEP_4) | instskip(NEXT) | instid1(VALU_DEP_1)
	v_add_co_u32 v5, s0, 0x200, v2
	v_add_co_ci_u32_e64 v6, s0, 0, v3, s0
	s_delay_alu instid0(VALU_DEP_4)
	v_add_co_u32 v7, s0, 0x800, v4
	v_mov_b32_e32 v4, 0
	v_add_co_ci_u32_e64 v8, s0, 0, v8, s0
	v_add_co_u32 v9, s0, 0x100, v1
	v_add_nc_u32_e32 v23, -16, v12
	v_subrev_nc_u32_e32 v24, 32, v12
	v_subrev_nc_u32_e32 v25, 64, v12
	v_add_nc_u32_e32 v26, 0xffffff80, v12
	v_add_nc_u32_e32 v27, 0xffffff00, v12
	;; [unrolled: 1-line block ×3, first 2 shown]
	v_add_co_ci_u32_e64 v10, null, 0, 0, s0
	s_subb_u32 s18, s31, s1
	s_add_i32 s19, s21, -1
	s_mov_b32 s17, 0
	s_branch .LBB48_43
.LBB48_42:                              ;   in Loop: Header=BB48_43 Depth=1
	s_or_b32 exec_lo, exec_lo, s16
	v_add_co_u32 v5, s0, 0x200, v5
	s_delay_alu instid0(VALU_DEP_1) | instskip(SKIP_1) | instid1(VALU_DEP_1)
	v_add_co_ci_u32_e64 v6, s0, 0, v6, s0
	v_add_co_u32 v7, s0, 0x800, v7
	v_add_co_ci_u32_e64 v8, s0, 0, v8, s0
	v_add_co_u32 v9, s0, 0x100, v9
	s_delay_alu instid0(VALU_DEP_1) | instskip(SKIP_1) | instid1(SALU_CYCLE_1)
	v_add_co_ci_u32_e64 v10, s0, 0, v10, s0
	s_add_i32 s19, s19, -1
	s_cmp_eq_u32 s19, 0
	s_cbranch_scc1 .LBB48_87
.LBB48_43:                              ; =>This Inner Loop Header: Depth=1
	v_dual_mov_b32 v3, -1 :: v_dual_mov_b32 v2, 0
	s_mov_b32 s1, exec_lo
	v_cmpx_gt_i64_e64 s[26:27], v[9:10]
	s_cbranch_execz .LBB48_45
; %bb.44:                               ;   in Loop: Header=BB48_43 Depth=1
	global_load_b64 v[1:2], v[7:8], off slc dlc
	s_waitcnt vmcnt(0)
	v_ashrrev_i32_e32 v3, 31, v2
	s_delay_alu instid0(VALU_DEP_1) | instskip(NEXT) | instid1(VALU_DEP_1)
	v_lshlrev_b64 v[2:3], 1, v[2:3]
	v_add_co_u32 v2, s0, s11, v2
	s_delay_alu instid0(VALU_DEP_1)
	v_add_co_ci_u32_e64 v3, s0, s18, v3, s0
	global_load_u16 v29, v[5:6], off
	global_load_u16 v2, v[2:3], off
	v_subrev_nc_u32_e32 v3, s24, v1
	s_waitcnt vmcnt(1)
	v_cvt_f32_f16_e32 v29, v29
	s_waitcnt vmcnt(0)
	v_cvt_f32_f16_e32 v2, v2
	s_delay_alu instid0(VALU_DEP_1)
	v_mul_f32_e32 v2, v29, v2
.LBB48_45:                              ;   in Loop: Header=BB48_43 Depth=1
	s_or_b32 exec_lo, exec_lo, s1
	s_and_saveexec_b32 s1, vcc_lo
	s_cbranch_execz .LBB48_52
; %bb.46:                               ;   in Loop: Header=BB48_43 Depth=1
	ds_load_b32 v1, v4 offset:1020
	s_waitcnt lgkmcnt(0)
	v_readfirstlane_b32 s16, v1
	v_cmp_ne_u32_e64 s0, v3, v1
	s_delay_alu instid0(VALU_DEP_1) | instskip(NEXT) | instid1(SALU_CYCLE_1)
	s_and_saveexec_b32 s21, s0
	s_xor_b32 s0, exec_lo, s21
	s_cbranch_execz .LBB48_49
; %bb.47:                               ;   in Loop: Header=BB48_43 Depth=1
	s_cmp_lt_i32 s16, 0
	s_cbranch_scc1 .LBB48_49
; %bb.48:                               ;   in Loop: Header=BB48_43 Depth=1
	s_lshl_b64 s[30:31], s[16:17], 2
	ds_load_b32 v29, v4 offset:2044
	s_add_u32 s30, s28, s30
	s_addc_u32 s31, s29, s31
	global_load_b32 v1, v4, s[30:31]
	s_waitcnt vmcnt(0) lgkmcnt(0)
	v_fmac_f32_e32 v1, s20, v29
	global_store_b32 v4, v1, s[30:31]
.LBB48_49:                              ;   in Loop: Header=BB48_43 Depth=1
	s_and_not1_saveexec_b32 s0, s0
	s_cbranch_execz .LBB48_51
; %bb.50:                               ;   in Loop: Header=BB48_43 Depth=1
	ds_load_b32 v1, v4 offset:2044
	s_waitcnt lgkmcnt(0)
	v_add_f32_e32 v2, v2, v1
.LBB48_51:                              ;   in Loop: Header=BB48_43 Depth=1
	s_or_b32 exec_lo, exec_lo, s0
.LBB48_52:                              ;   in Loop: Header=BB48_43 Depth=1
	s_delay_alu instid0(SALU_CYCLE_1)
	s_or_b32 exec_lo, exec_lo, s1
	s_waitcnt lgkmcnt(0)
	s_waitcnt_vscnt null, 0x0
	s_barrier
	buffer_gl0_inv
	ds_store_b32 v11, v3
	ds_store_b32 v12, v2
	s_waitcnt lgkmcnt(0)
	s_barrier
	buffer_gl0_inv
	s_and_saveexec_b32 s1, s2
	s_cbranch_execz .LBB48_56
; %bb.53:                               ;   in Loop: Header=BB48_43 Depth=1
	ds_load_b32 v1, v13
	s_mov_b32 s16, exec_lo
	s_waitcnt lgkmcnt(0)
	v_cmpx_eq_u32_e64 v3, v1
	s_cbranch_execz .LBB48_55
; %bb.54:                               ;   in Loop: Header=BB48_43 Depth=1
	ds_load_b32 v1, v21
	s_waitcnt lgkmcnt(0)
	v_add_f32_e32 v2, v2, v1
.LBB48_55:                              ;   in Loop: Header=BB48_43 Depth=1
	s_or_b32 exec_lo, exec_lo, s16
.LBB48_56:                              ;   in Loop: Header=BB48_43 Depth=1
	s_delay_alu instid0(SALU_CYCLE_1)
	s_or_b32 exec_lo, exec_lo, s1
	s_barrier
	buffer_gl0_inv
	ds_store_b32 v12, v2
	s_waitcnt lgkmcnt(0)
	s_barrier
	buffer_gl0_inv
	s_and_saveexec_b32 s1, s3
	s_cbranch_execz .LBB48_60
; %bb.57:                               ;   in Loop: Header=BB48_43 Depth=1
	ds_load_b32 v1, v14
	s_mov_b32 s16, exec_lo
	s_waitcnt lgkmcnt(0)
	v_cmpx_eq_u32_e64 v3, v1
	s_cbranch_execz .LBB48_59
; %bb.58:                               ;   in Loop: Header=BB48_43 Depth=1
	ds_load_b32 v1, v22
	s_waitcnt lgkmcnt(0)
	v_add_f32_e32 v2, v2, v1
.LBB48_59:                              ;   in Loop: Header=BB48_43 Depth=1
	s_or_b32 exec_lo, exec_lo, s16
.LBB48_60:                              ;   in Loop: Header=BB48_43 Depth=1
	s_delay_alu instid0(SALU_CYCLE_1)
	s_or_b32 exec_lo, exec_lo, s1
	s_barrier
	buffer_gl0_inv
	;; [unrolled: 23-line block ×8, first 2 shown]
	ds_store_b32 v12, v2
	s_waitcnt lgkmcnt(0)
	s_barrier
	buffer_gl0_inv
	s_and_saveexec_b32 s16, s10
	s_cbranch_execz .LBB48_42
; %bb.85:                               ;   in Loop: Header=BB48_43 Depth=1
	ds_load_b32 v1, v11 offset:4
	v_cmp_lt_i32_e64 s1, -1, v3
	s_waitcnt lgkmcnt(0)
	v_cmp_ne_u32_e64 s0, v3, v1
	s_delay_alu instid0(VALU_DEP_1) | instskip(NEXT) | instid1(SALU_CYCLE_1)
	s_and_b32 s0, s1, s0
	s_and_b32 exec_lo, exec_lo, s0
	s_cbranch_execz .LBB48_42
; %bb.86:                               ;   in Loop: Header=BB48_43 Depth=1
	v_lshlrev_b64 v[29:30], 2, v[3:4]
	s_delay_alu instid0(VALU_DEP_1) | instskip(NEXT) | instid1(VALU_DEP_1)
	v_add_co_u32 v29, s0, s28, v29
	v_add_co_ci_u32_e64 v30, s0, s29, v30, s0
	global_load_b32 v1, v[29:30], off
	s_waitcnt vmcnt(0)
	v_fmac_f32_e32 v1, s20, v2
	global_store_b32 v[29:30], v1, off
	s_branch .LBB48_42
.LBB48_87:
	s_mov_b32 s0, exec_lo
	v_cmpx_eq_u32_e32 0xff, v0
	s_cbranch_execz .LBB48_89
; %bb.88:
	s_mov_b32 s23, 0
	v_dual_mov_b32 v0, 0 :: v_dual_mul_f32 v1, s20, v2
	s_lshl_b64 s[0:1], s[22:23], 2
	s_waitcnt lgkmcnt(0)
	s_add_u32 s2, s12, s0
	s_addc_u32 s3, s13, s1
	s_add_u32 s0, s14, s0
	s_addc_u32 s1, s15, s1
	s_clause 0x1
	global_store_b32 v0, v3, s[2:3] glc slc dlc
	global_store_b32 v0, v1, s[0:1] glc slc dlc
.LBB48_89:
	s_nop 0
	s_sendmsg sendmsg(MSG_DEALLOC_VGPRS)
	s_endpgm
	.section	.rodata,"a",@progbits
	.p2align	6, 0x0
	.amdhsa_kernel _ZN9rocsparseL26coomvn_aos_segmented_loopsILj256EiDF16_DF16_ffEEvlT0_NS_24const_host_device_scalarIT4_EEPKS1_PKT1_PKT2_PT3_PS1_PS3_21rocsparse_index_base_b
		.amdhsa_group_segment_fixed_size 2048
		.amdhsa_private_segment_fixed_size 0
		.amdhsa_kernarg_size 80
		.amdhsa_user_sgpr_count 15
		.amdhsa_user_sgpr_dispatch_ptr 0
		.amdhsa_user_sgpr_queue_ptr 0
		.amdhsa_user_sgpr_kernarg_segment_ptr 1
		.amdhsa_user_sgpr_dispatch_id 0
		.amdhsa_user_sgpr_private_segment_size 0
		.amdhsa_wavefront_size32 1
		.amdhsa_uses_dynamic_stack 0
		.amdhsa_enable_private_segment 0
		.amdhsa_system_sgpr_workgroup_id_x 1
		.amdhsa_system_sgpr_workgroup_id_y 0
		.amdhsa_system_sgpr_workgroup_id_z 0
		.amdhsa_system_sgpr_workgroup_info 0
		.amdhsa_system_vgpr_workitem_id 0
		.amdhsa_next_free_vgpr 31
		.amdhsa_next_free_sgpr 32
		.amdhsa_reserve_vcc 1
		.amdhsa_float_round_mode_32 0
		.amdhsa_float_round_mode_16_64 0
		.amdhsa_float_denorm_mode_32 3
		.amdhsa_float_denorm_mode_16_64 3
		.amdhsa_dx10_clamp 1
		.amdhsa_ieee_mode 1
		.amdhsa_fp16_overflow 0
		.amdhsa_workgroup_processor_mode 1
		.amdhsa_memory_ordered 1
		.amdhsa_forward_progress 0
		.amdhsa_shared_vgpr_count 0
		.amdhsa_exception_fp_ieee_invalid_op 0
		.amdhsa_exception_fp_denorm_src 0
		.amdhsa_exception_fp_ieee_div_zero 0
		.amdhsa_exception_fp_ieee_overflow 0
		.amdhsa_exception_fp_ieee_underflow 0
		.amdhsa_exception_fp_ieee_inexact 0
		.amdhsa_exception_int_div_zero 0
	.end_amdhsa_kernel
	.section	.text._ZN9rocsparseL26coomvn_aos_segmented_loopsILj256EiDF16_DF16_ffEEvlT0_NS_24const_host_device_scalarIT4_EEPKS1_PKT1_PKT2_PT3_PS1_PS3_21rocsparse_index_base_b,"axG",@progbits,_ZN9rocsparseL26coomvn_aos_segmented_loopsILj256EiDF16_DF16_ffEEvlT0_NS_24const_host_device_scalarIT4_EEPKS1_PKT1_PKT2_PT3_PS1_PS3_21rocsparse_index_base_b,comdat
.Lfunc_end48:
	.size	_ZN9rocsparseL26coomvn_aos_segmented_loopsILj256EiDF16_DF16_ffEEvlT0_NS_24const_host_device_scalarIT4_EEPKS1_PKT1_PKT2_PT3_PS1_PS3_21rocsparse_index_base_b, .Lfunc_end48-_ZN9rocsparseL26coomvn_aos_segmented_loopsILj256EiDF16_DF16_ffEEvlT0_NS_24const_host_device_scalarIT4_EEPKS1_PKT1_PKT2_PT3_PS1_PS3_21rocsparse_index_base_b
                                        ; -- End function
	.section	.AMDGPU.csdata,"",@progbits
; Kernel info:
; codeLenInByte = 3044
; NumSgprs: 34
; NumVgprs: 31
; ScratchSize: 0
; MemoryBound: 0
; FloatMode: 240
; IeeeMode: 1
; LDSByteSize: 2048 bytes/workgroup (compile time only)
; SGPRBlocks: 4
; VGPRBlocks: 3
; NumSGPRsForWavesPerEU: 34
; NumVGPRsForWavesPerEU: 31
; Occupancy: 16
; WaveLimiterHint : 1
; COMPUTE_PGM_RSRC2:SCRATCH_EN: 0
; COMPUTE_PGM_RSRC2:USER_SGPR: 15
; COMPUTE_PGM_RSRC2:TRAP_HANDLER: 0
; COMPUTE_PGM_RSRC2:TGID_X_EN: 1
; COMPUTE_PGM_RSRC2:TGID_Y_EN: 0
; COMPUTE_PGM_RSRC2:TGID_Z_EN: 0
; COMPUTE_PGM_RSRC2:TIDIG_COMP_CNT: 0
	.section	.text._ZN9rocsparseL23coomvn_aos_atomic_loopsILj256ELj1ElDF16_DF16_ffEEvlNS_24const_host_device_scalarIT5_EEPKT1_PKT2_PKT3_PT4_21rocsparse_index_base_b,"axG",@progbits,_ZN9rocsparseL23coomvn_aos_atomic_loopsILj256ELj1ElDF16_DF16_ffEEvlNS_24const_host_device_scalarIT5_EEPKT1_PKT2_PKT3_PT4_21rocsparse_index_base_b,comdat
	.globl	_ZN9rocsparseL23coomvn_aos_atomic_loopsILj256ELj1ElDF16_DF16_ffEEvlNS_24const_host_device_scalarIT5_EEPKT1_PKT2_PKT3_PT4_21rocsparse_index_base_b ; -- Begin function _ZN9rocsparseL23coomvn_aos_atomic_loopsILj256ELj1ElDF16_DF16_ffEEvlNS_24const_host_device_scalarIT5_EEPKT1_PKT2_PKT3_PT4_21rocsparse_index_base_b
	.p2align	8
	.type	_ZN9rocsparseL23coomvn_aos_atomic_loopsILj256ELj1ElDF16_DF16_ffEEvlNS_24const_host_device_scalarIT5_EEPKT1_PKT2_PKT3_PT4_21rocsparse_index_base_b,@function
_ZN9rocsparseL23coomvn_aos_atomic_loopsILj256ELj1ElDF16_DF16_ffEEvlNS_24const_host_device_scalarIT5_EEPKT1_PKT2_PKT3_PT4_21rocsparse_index_base_b: ; @_ZN9rocsparseL23coomvn_aos_atomic_loopsILj256ELj1ElDF16_DF16_ffEEvlNS_24const_host_device_scalarIT5_EEPKT1_PKT2_PKT3_PT4_21rocsparse_index_base_b
; %bb.0:
	s_clause 0x1
	s_load_b64 s[2:3], s[0:1], 0x30
	s_load_b128 s[4:7], s[0:1], 0x0
	s_waitcnt lgkmcnt(0)
	s_bitcmp1_b32 s3, 0
	s_cselect_b32 s3, -1, 0
	s_delay_alu instid0(SALU_CYCLE_1)
	s_and_b32 vcc_lo, exec_lo, s3
	s_cbranch_vccnz .LBB49_2
; %bb.1:
	s_load_b32 s6, s[6:7], 0x0
.LBB49_2:
	s_waitcnt lgkmcnt(0)
	v_cmp_eq_f32_e64 s3, s6, 0
	s_delay_alu instid0(VALU_DEP_1)
	s_and_b32 vcc_lo, exec_lo, s3
	s_cbranch_vccnz .LBB49_44
; %bb.3:
	v_dual_mov_b32 v2, 0 :: v_dual_mov_b32 v3, -1
	v_lshl_or_b32 v1, s15, 8, v0
	v_mov_b32_e32 v4, -1
	s_mov_b32 s3, exec_lo
	s_delay_alu instid0(VALU_DEP_2)
	v_cmpx_gt_i64_e64 s[4:5], v[1:2]
	s_cbranch_execz .LBB49_5
; %bb.4:
	s_clause 0x1
	s_load_b128 s[8:11], s[0:1], 0x10
	s_load_b64 s[4:5], s[0:1], 0x20
	v_lshlrev_b64 v[3:4], 4, v[1:2]
	v_lshlrev_b64 v[1:2], 1, v[1:2]
	s_waitcnt lgkmcnt(0)
	s_delay_alu instid0(VALU_DEP_2) | instskip(NEXT) | instid1(VALU_DEP_3)
	v_add_co_u32 v3, vcc_lo, s8, v3
	v_add_co_ci_u32_e32 v4, vcc_lo, s9, v4, vcc_lo
	global_load_b128 v[3:6], v[3:4], off slc dlc
	s_waitcnt vmcnt(0)
	v_sub_co_u32 v5, vcc_lo, v5, s2
	v_subrev_co_ci_u32_e32 v6, vcc_lo, 0, v6, vcc_lo
	v_add_co_u32 v1, vcc_lo, s10, v1
	v_add_co_ci_u32_e32 v2, vcc_lo, s11, v2, vcc_lo
	s_delay_alu instid0(VALU_DEP_3) | instskip(NEXT) | instid1(VALU_DEP_1)
	v_lshlrev_b64 v[5:6], 1, v[5:6]
	v_add_co_u32 v5, vcc_lo, s4, v5
	s_delay_alu instid0(VALU_DEP_2)
	v_add_co_ci_u32_e32 v6, vcc_lo, s5, v6, vcc_lo
	v_sub_co_u32 v3, vcc_lo, v3, s2
	global_load_u16 v1, v[1:2], off
	global_load_u16 v2, v[5:6], off
	v_subrev_co_ci_u32_e32 v4, vcc_lo, 0, v4, vcc_lo
	s_waitcnt vmcnt(1)
	v_cvt_f32_f16_e32 v1, v1
	s_waitcnt vmcnt(0)
	v_cvt_f32_f16_e32 v2, v2
	s_delay_alu instid0(VALU_DEP_1)
	v_mul_f32_e32 v2, v1, v2
.LBB49_5:
	s_or_b32 exec_lo, exec_lo, s3
	v_lshlrev_b32_e32 v6, 2, v0
	v_lshlrev_b32_e32 v1, 3, v0
	s_mov_b32 s2, exec_lo
	ds_store_b64 v1, v[3:4]
	ds_store_b32 v6, v2 offset:2048
	v_or_b32_e32 v5, 0x800, v6
	s_waitcnt lgkmcnt(0)
	s_barrier
	buffer_gl0_inv
	v_cmpx_ne_u32_e32 0, v0
	s_cbranch_execz .LBB49_9
; %bb.6:
	v_add_nc_u32_e32 v6, -8, v1
	s_mov_b32 s3, exec_lo
	ds_load_b64 v[6:7], v6
	s_waitcnt lgkmcnt(0)
	v_cmpx_eq_u64_e64 v[3:4], v[6:7]
	s_cbranch_execz .LBB49_8
; %bb.7:
	v_add_nc_u32_e32 v6, -4, v5
	ds_load_b32 v6, v6
	s_waitcnt lgkmcnt(0)
	v_add_f32_e32 v2, v2, v6
.LBB49_8:
	s_or_b32 exec_lo, exec_lo, s3
.LBB49_9:
	s_delay_alu instid0(SALU_CYCLE_1) | instskip(NEXT) | instid1(SALU_CYCLE_1)
	s_or_b32 exec_lo, exec_lo, s2
	s_mov_b32 s2, exec_lo
	s_barrier
	buffer_gl0_inv
	ds_store_b32 v5, v2
	s_waitcnt lgkmcnt(0)
	s_barrier
	buffer_gl0_inv
	v_cmpx_lt_u32_e32 1, v0
	s_cbranch_execz .LBB49_13
; %bb.10:
	v_add_nc_u32_e32 v6, -16, v1
	s_mov_b32 s3, exec_lo
	ds_load_b64 v[6:7], v6
	s_waitcnt lgkmcnt(0)
	v_cmpx_eq_u64_e64 v[3:4], v[6:7]
	s_cbranch_execz .LBB49_12
; %bb.11:
	v_add_nc_u32_e32 v6, -8, v5
	ds_load_b32 v6, v6
	s_waitcnt lgkmcnt(0)
	v_add_f32_e32 v2, v2, v6
.LBB49_12:
	s_or_b32 exec_lo, exec_lo, s3
.LBB49_13:
	s_delay_alu instid0(SALU_CYCLE_1) | instskip(NEXT) | instid1(SALU_CYCLE_1)
	s_or_b32 exec_lo, exec_lo, s2
	s_mov_b32 s2, exec_lo
	s_barrier
	buffer_gl0_inv
	ds_store_b32 v5, v2
	s_waitcnt lgkmcnt(0)
	s_barrier
	buffer_gl0_inv
	v_cmpx_lt_u32_e32 3, v0
	s_cbranch_execz .LBB49_17
; %bb.14:
	v_subrev_nc_u32_e32 v6, 32, v1
	s_mov_b32 s3, exec_lo
	ds_load_b64 v[6:7], v6
	s_waitcnt lgkmcnt(0)
	v_cmpx_eq_u64_e64 v[3:4], v[6:7]
	s_cbranch_execz .LBB49_16
; %bb.15:
	v_add_nc_u32_e32 v6, -16, v5
	ds_load_b32 v6, v6
	s_waitcnt lgkmcnt(0)
	v_add_f32_e32 v2, v2, v6
.LBB49_16:
	s_or_b32 exec_lo, exec_lo, s3
.LBB49_17:
	s_delay_alu instid0(SALU_CYCLE_1) | instskip(NEXT) | instid1(SALU_CYCLE_1)
	s_or_b32 exec_lo, exec_lo, s2
	s_mov_b32 s2, exec_lo
	s_barrier
	buffer_gl0_inv
	ds_store_b32 v5, v2
	s_waitcnt lgkmcnt(0)
	s_barrier
	buffer_gl0_inv
	v_cmpx_lt_u32_e32 7, v0
	s_cbranch_execz .LBB49_21
; %bb.18:
	v_subrev_nc_u32_e32 v6, 64, v1
	s_mov_b32 s3, exec_lo
	ds_load_b64 v[6:7], v6
	s_waitcnt lgkmcnt(0)
	v_cmpx_eq_u64_e64 v[3:4], v[6:7]
	s_cbranch_execz .LBB49_20
; %bb.19:
	v_subrev_nc_u32_e32 v6, 32, v5
	ds_load_b32 v6, v6
	s_waitcnt lgkmcnt(0)
	v_add_f32_e32 v2, v2, v6
.LBB49_20:
	s_or_b32 exec_lo, exec_lo, s3
.LBB49_21:
	s_delay_alu instid0(SALU_CYCLE_1) | instskip(NEXT) | instid1(SALU_CYCLE_1)
	s_or_b32 exec_lo, exec_lo, s2
	s_mov_b32 s2, exec_lo
	s_barrier
	buffer_gl0_inv
	ds_store_b32 v5, v2
	s_waitcnt lgkmcnt(0)
	s_barrier
	buffer_gl0_inv
	v_cmpx_lt_u32_e32 15, v0
	s_cbranch_execz .LBB49_25
; %bb.22:
	v_add_nc_u32_e32 v6, 0xffffff80, v1
	s_mov_b32 s3, exec_lo
	ds_load_b64 v[6:7], v6
	s_waitcnt lgkmcnt(0)
	v_cmpx_eq_u64_e64 v[3:4], v[6:7]
	s_cbranch_execz .LBB49_24
; %bb.23:
	v_subrev_nc_u32_e32 v6, 64, v5
	ds_load_b32 v6, v6
	s_waitcnt lgkmcnt(0)
	v_add_f32_e32 v2, v2, v6
.LBB49_24:
	s_or_b32 exec_lo, exec_lo, s3
.LBB49_25:
	s_delay_alu instid0(SALU_CYCLE_1) | instskip(NEXT) | instid1(SALU_CYCLE_1)
	s_or_b32 exec_lo, exec_lo, s2
	s_mov_b32 s2, exec_lo
	s_barrier
	buffer_gl0_inv
	ds_store_b32 v5, v2
	s_waitcnt lgkmcnt(0)
	s_barrier
	buffer_gl0_inv
	v_cmpx_lt_u32_e32 31, v0
	s_cbranch_execz .LBB49_29
; %bb.26:
	v_add_nc_u32_e32 v6, 0xffffff00, v1
	s_mov_b32 s3, exec_lo
	ds_load_b64 v[6:7], v6
	s_waitcnt lgkmcnt(0)
	v_cmpx_eq_u64_e64 v[3:4], v[6:7]
	s_cbranch_execz .LBB49_28
; %bb.27:
	v_add_nc_u32_e32 v6, 0xffffff80, v5
	ds_load_b32 v6, v6
	s_waitcnt lgkmcnt(0)
	v_add_f32_e32 v2, v2, v6
.LBB49_28:
	s_or_b32 exec_lo, exec_lo, s3
.LBB49_29:
	s_delay_alu instid0(SALU_CYCLE_1) | instskip(NEXT) | instid1(SALU_CYCLE_1)
	s_or_b32 exec_lo, exec_lo, s2
	s_mov_b32 s2, exec_lo
	s_barrier
	buffer_gl0_inv
	ds_store_b32 v5, v2
	s_waitcnt lgkmcnt(0)
	s_barrier
	buffer_gl0_inv
	v_cmpx_lt_u32_e32 63, v0
	s_cbranch_execz .LBB49_33
; %bb.30:
	v_add_nc_u32_e32 v6, 0xfffffe00, v1
	s_mov_b32 s3, exec_lo
	ds_load_b64 v[6:7], v6
	s_waitcnt lgkmcnt(0)
	v_cmpx_eq_u64_e64 v[3:4], v[6:7]
	s_cbranch_execz .LBB49_32
; %bb.31:
	v_add_nc_u32_e32 v6, 0xffffff00, v5
	ds_load_b32 v6, v6
	s_waitcnt lgkmcnt(0)
	v_add_f32_e32 v2, v2, v6
.LBB49_32:
	s_or_b32 exec_lo, exec_lo, s3
.LBB49_33:
	s_delay_alu instid0(SALU_CYCLE_1)
	s_or_b32 exec_lo, exec_lo, s2
	s_load_b64 s[2:3], s[0:1], 0x28
	s_mov_b32 s0, exec_lo
	s_waitcnt lgkmcnt(0)
	s_barrier
	buffer_gl0_inv
	ds_store_b32 v5, v2
	s_waitcnt lgkmcnt(0)
	s_barrier
	buffer_gl0_inv
	v_cmpx_lt_u32_e32 0x7f, v0
	s_cbranch_execz .LBB49_37
; %bb.34:
	v_add_nc_u32_e32 v6, 0xfffffc00, v1
	s_mov_b32 s1, exec_lo
	ds_load_b64 v[6:7], v6
	s_waitcnt lgkmcnt(0)
	v_cmpx_eq_u64_e64 v[3:4], v[6:7]
	s_cbranch_execz .LBB49_36
; %bb.35:
	v_add_nc_u32_e32 v6, 0xfffffe00, v5
	ds_load_b32 v6, v6
	s_waitcnt lgkmcnt(0)
	v_add_f32_e32 v2, v2, v6
.LBB49_36:
	s_or_b32 exec_lo, exec_lo, s1
.LBB49_37:
	s_delay_alu instid0(SALU_CYCLE_1) | instskip(NEXT) | instid1(SALU_CYCLE_1)
	s_or_b32 exec_lo, exec_lo, s0
	s_mov_b32 s1, exec_lo
	s_barrier
	buffer_gl0_inv
	ds_store_b32 v5, v2
	s_waitcnt lgkmcnt(0)
	s_barrier
	buffer_gl0_inv
	v_cmpx_gt_u32_e32 0xff, v0
	s_cbranch_execz .LBB49_41
; %bb.38:
	ds_load_b64 v[5:6], v1 offset:8
	v_cmp_lt_i64_e64 s0, -1, v[3:4]
	s_waitcnt lgkmcnt(0)
	v_cmp_ne_u64_e32 vcc_lo, v[3:4], v[5:6]
	s_delay_alu instid0(VALU_DEP_2) | instskip(NEXT) | instid1(SALU_CYCLE_1)
	s_and_b32 s0, s0, vcc_lo
	s_and_b32 exec_lo, exec_lo, s0
	s_cbranch_execz .LBB49_41
; %bb.39:
	v_lshlrev_b64 v[5:6], 2, v[3:4]
	v_mul_f32_e32 v1, s6, v2
	s_mov_b32 s0, 0
	s_delay_alu instid0(VALU_DEP_2) | instskip(NEXT) | instid1(VALU_DEP_3)
	v_add_co_u32 v5, vcc_lo, s2, v5
	v_add_co_ci_u32_e32 v6, vcc_lo, s3, v6, vcc_lo
	global_load_b32 v8, v[5:6], off
.LBB49_40:                              ; =>This Inner Loop Header: Depth=1
	s_waitcnt vmcnt(0)
	v_add_f32_e32 v7, v8, v1
	global_atomic_cmpswap_b32 v7, v[5:6], v[7:8], off glc
	s_waitcnt vmcnt(0)
	v_cmp_eq_u32_e32 vcc_lo, v7, v8
	v_mov_b32_e32 v8, v7
	s_or_b32 s0, vcc_lo, s0
	s_delay_alu instid0(SALU_CYCLE_1)
	s_and_not1_b32 exec_lo, exec_lo, s0
	s_cbranch_execnz .LBB49_40
.LBB49_41:
	s_or_b32 exec_lo, exec_lo, s1
	v_cmp_lt_i64_e32 vcc_lo, -1, v[3:4]
	v_cmp_eq_u32_e64 s0, 0xff, v0
	s_delay_alu instid0(VALU_DEP_1) | instskip(NEXT) | instid1(SALU_CYCLE_1)
	s_and_b32 s0, s0, vcc_lo
	s_and_saveexec_b32 s1, s0
	s_cbranch_execz .LBB49_44
; %bb.42:
	v_lshlrev_b64 v[0:1], 2, v[3:4]
	v_mul_f32_e32 v4, s6, v2
	s_mov_b32 s0, 0
	s_delay_alu instid0(VALU_DEP_2) | instskip(NEXT) | instid1(VALU_DEP_3)
	v_add_co_u32 v0, vcc_lo, s2, v0
	v_add_co_ci_u32_e32 v1, vcc_lo, s3, v1, vcc_lo
	global_load_b32 v3, v[0:1], off
.LBB49_43:                              ; =>This Inner Loop Header: Depth=1
	s_waitcnt vmcnt(0)
	v_add_f32_e32 v2, v3, v4
	global_atomic_cmpswap_b32 v2, v[0:1], v[2:3], off glc
	s_waitcnt vmcnt(0)
	v_cmp_eq_u32_e32 vcc_lo, v2, v3
	v_mov_b32_e32 v3, v2
	s_or_b32 s0, vcc_lo, s0
	s_delay_alu instid0(SALU_CYCLE_1)
	s_and_not1_b32 exec_lo, exec_lo, s0
	s_cbranch_execnz .LBB49_43
.LBB49_44:
	s_endpgm
	.section	.rodata,"a",@progbits
	.p2align	6, 0x0
	.amdhsa_kernel _ZN9rocsparseL23coomvn_aos_atomic_loopsILj256ELj1ElDF16_DF16_ffEEvlNS_24const_host_device_scalarIT5_EEPKT1_PKT2_PKT3_PT4_21rocsparse_index_base_b
		.amdhsa_group_segment_fixed_size 3072
		.amdhsa_private_segment_fixed_size 0
		.amdhsa_kernarg_size 56
		.amdhsa_user_sgpr_count 15
		.amdhsa_user_sgpr_dispatch_ptr 0
		.amdhsa_user_sgpr_queue_ptr 0
		.amdhsa_user_sgpr_kernarg_segment_ptr 1
		.amdhsa_user_sgpr_dispatch_id 0
		.amdhsa_user_sgpr_private_segment_size 0
		.amdhsa_wavefront_size32 1
		.amdhsa_uses_dynamic_stack 0
		.amdhsa_enable_private_segment 0
		.amdhsa_system_sgpr_workgroup_id_x 1
		.amdhsa_system_sgpr_workgroup_id_y 0
		.amdhsa_system_sgpr_workgroup_id_z 0
		.amdhsa_system_sgpr_workgroup_info 0
		.amdhsa_system_vgpr_workitem_id 0
		.amdhsa_next_free_vgpr 9
		.amdhsa_next_free_sgpr 16
		.amdhsa_reserve_vcc 1
		.amdhsa_float_round_mode_32 0
		.amdhsa_float_round_mode_16_64 0
		.amdhsa_float_denorm_mode_32 3
		.amdhsa_float_denorm_mode_16_64 3
		.amdhsa_dx10_clamp 1
		.amdhsa_ieee_mode 1
		.amdhsa_fp16_overflow 0
		.amdhsa_workgroup_processor_mode 1
		.amdhsa_memory_ordered 1
		.amdhsa_forward_progress 0
		.amdhsa_shared_vgpr_count 0
		.amdhsa_exception_fp_ieee_invalid_op 0
		.amdhsa_exception_fp_denorm_src 0
		.amdhsa_exception_fp_ieee_div_zero 0
		.amdhsa_exception_fp_ieee_overflow 0
		.amdhsa_exception_fp_ieee_underflow 0
		.amdhsa_exception_fp_ieee_inexact 0
		.amdhsa_exception_int_div_zero 0
	.end_amdhsa_kernel
	.section	.text._ZN9rocsparseL23coomvn_aos_atomic_loopsILj256ELj1ElDF16_DF16_ffEEvlNS_24const_host_device_scalarIT5_EEPKT1_PKT2_PKT3_PT4_21rocsparse_index_base_b,"axG",@progbits,_ZN9rocsparseL23coomvn_aos_atomic_loopsILj256ELj1ElDF16_DF16_ffEEvlNS_24const_host_device_scalarIT5_EEPKT1_PKT2_PKT3_PT4_21rocsparse_index_base_b,comdat
.Lfunc_end49:
	.size	_ZN9rocsparseL23coomvn_aos_atomic_loopsILj256ELj1ElDF16_DF16_ffEEvlNS_24const_host_device_scalarIT5_EEPKT1_PKT2_PKT3_PT4_21rocsparse_index_base_b, .Lfunc_end49-_ZN9rocsparseL23coomvn_aos_atomic_loopsILj256ELj1ElDF16_DF16_ffEEvlNS_24const_host_device_scalarIT5_EEPKT1_PKT2_PKT3_PT4_21rocsparse_index_base_b
                                        ; -- End function
	.section	.AMDGPU.csdata,"",@progbits
; Kernel info:
; codeLenInByte = 1544
; NumSgprs: 18
; NumVgprs: 9
; ScratchSize: 0
; MemoryBound: 0
; FloatMode: 240
; IeeeMode: 1
; LDSByteSize: 3072 bytes/workgroup (compile time only)
; SGPRBlocks: 2
; VGPRBlocks: 1
; NumSGPRsForWavesPerEU: 18
; NumVGPRsForWavesPerEU: 9
; Occupancy: 16
; WaveLimiterHint : 1
; COMPUTE_PGM_RSRC2:SCRATCH_EN: 0
; COMPUTE_PGM_RSRC2:USER_SGPR: 15
; COMPUTE_PGM_RSRC2:TRAP_HANDLER: 0
; COMPUTE_PGM_RSRC2:TGID_X_EN: 1
; COMPUTE_PGM_RSRC2:TGID_Y_EN: 0
; COMPUTE_PGM_RSRC2:TGID_Z_EN: 0
; COMPUTE_PGM_RSRC2:TIDIG_COMP_CNT: 0
	.section	.text._ZN9rocsparseL17coomvt_aos_kernelILj1024ElDF16_DF16_ffEEv20rocsparse_operation_lNS_24const_host_device_scalarIT4_EEPKT0_PKT1_PKT2_PT3_21rocsparse_index_base_b,"axG",@progbits,_ZN9rocsparseL17coomvt_aos_kernelILj1024ElDF16_DF16_ffEEv20rocsparse_operation_lNS_24const_host_device_scalarIT4_EEPKT0_PKT1_PKT2_PT3_21rocsparse_index_base_b,comdat
	.globl	_ZN9rocsparseL17coomvt_aos_kernelILj1024ElDF16_DF16_ffEEv20rocsparse_operation_lNS_24const_host_device_scalarIT4_EEPKT0_PKT1_PKT2_PT3_21rocsparse_index_base_b ; -- Begin function _ZN9rocsparseL17coomvt_aos_kernelILj1024ElDF16_DF16_ffEEv20rocsparse_operation_lNS_24const_host_device_scalarIT4_EEPKT0_PKT1_PKT2_PT3_21rocsparse_index_base_b
	.p2align	8
	.type	_ZN9rocsparseL17coomvt_aos_kernelILj1024ElDF16_DF16_ffEEv20rocsparse_operation_lNS_24const_host_device_scalarIT4_EEPKT0_PKT1_PKT2_PT3_21rocsparse_index_base_b,@function
_ZN9rocsparseL17coomvt_aos_kernelILj1024ElDF16_DF16_ffEEv20rocsparse_operation_lNS_24const_host_device_scalarIT4_EEPKT0_PKT1_PKT2_PT3_21rocsparse_index_base_b: ; @_ZN9rocsparseL17coomvt_aos_kernelILj1024ElDF16_DF16_ffEEv20rocsparse_operation_lNS_24const_host_device_scalarIT4_EEPKT0_PKT1_PKT2_PT3_21rocsparse_index_base_b
; %bb.0:
	s_clause 0x1
	s_load_b64 s[12:13], s[0:1], 0x38
	s_load_b128 s[8:11], s[0:1], 0x8
	s_waitcnt lgkmcnt(0)
	s_bitcmp1_b32 s13, 0
	s_cselect_b32 s2, -1, 0
	s_delay_alu instid0(SALU_CYCLE_1)
	s_and_b32 vcc_lo, exec_lo, s2
	s_cbranch_vccnz .LBB50_2
; %bb.1:
	s_load_b32 s10, s[10:11], 0x0
.LBB50_2:
	s_waitcnt lgkmcnt(0)
	v_cmp_eq_f32_e64 s2, s10, 0
	s_delay_alu instid0(VALU_DEP_1)
	s_and_b32 vcc_lo, exec_lo, s2
	s_cbranch_vccnz .LBB50_6
; %bb.3:
	s_load_b32 s2, s[0:1], 0x4c
	s_waitcnt lgkmcnt(0)
	s_and_b32 s2, s2, 0xffff
	s_delay_alu instid0(SALU_CYCLE_1) | instskip(SKIP_2) | instid1(VALU_DEP_1)
	v_mad_u64_u32 v[1:2], null, s15, s2, v[0:1]
	v_mov_b32_e32 v2, 0
	s_mov_b32 s2, exec_lo
	v_cmpx_gt_i64_e64 s[8:9], v[1:2]
	s_cbranch_execz .LBB50_6
; %bb.4:
	s_load_b256 s[0:7], s[0:1], 0x18
	v_lshlrev_b64 v[3:4], 4, v[1:2]
	v_lshlrev_b64 v[0:1], 1, v[1:2]
	s_waitcnt lgkmcnt(0)
	s_delay_alu instid0(VALU_DEP_2) | instskip(NEXT) | instid1(VALU_DEP_3)
	v_add_co_u32 v3, vcc_lo, s0, v3
	v_add_co_ci_u32_e32 v4, vcc_lo, s1, v4, vcc_lo
	s_delay_alu instid0(VALU_DEP_3) | instskip(NEXT) | instid1(VALU_DEP_4)
	v_add_co_u32 v0, vcc_lo, s2, v0
	v_add_co_ci_u32_e32 v1, vcc_lo, s3, v1, vcc_lo
	global_load_b128 v[3:6], v[3:4], off
	s_mov_b32 s0, 0
	s_waitcnt vmcnt(0)
	v_sub_co_u32 v2, vcc_lo, v3, s12
	v_subrev_co_ci_u32_e32 v3, vcc_lo, 0, v4, vcc_lo
	global_load_u16 v4, v[0:1], off
	v_lshlrev_b64 v[0:1], 1, v[2:3]
	v_sub_co_u32 v2, vcc_lo, v5, s12
	v_subrev_co_ci_u32_e32 v3, vcc_lo, 0, v6, vcc_lo
	s_delay_alu instid0(VALU_DEP_3) | instskip(NEXT) | instid1(VALU_DEP_4)
	v_add_co_u32 v0, vcc_lo, s4, v0
	v_add_co_ci_u32_e32 v1, vcc_lo, s5, v1, vcc_lo
	s_delay_alu instid0(VALU_DEP_3)
	v_lshlrev_b64 v[2:3], 2, v[2:3]
	global_load_u16 v5, v[0:1], off
	v_add_co_u32 v0, vcc_lo, s6, v2
	v_add_co_ci_u32_e32 v1, vcc_lo, s7, v3, vcc_lo
	global_load_b32 v3, v[0:1], off
	s_waitcnt vmcnt(2)
	v_cvt_f32_f16_e32 v2, v4
	s_delay_alu instid0(VALU_DEP_1) | instskip(SKIP_2) | instid1(VALU_DEP_1)
	v_mul_f32_e32 v2, s10, v2
	s_waitcnt vmcnt(1)
	v_cvt_f32_f16_e32 v4, v5
	v_mul_f32_e32 v4, v2, v4
.LBB50_5:                               ; =>This Inner Loop Header: Depth=1
	s_waitcnt vmcnt(0)
	s_delay_alu instid0(VALU_DEP_1)
	v_add_f32_e32 v2, v3, v4
	global_atomic_cmpswap_b32 v2, v[0:1], v[2:3], off glc
	s_waitcnt vmcnt(0)
	v_cmp_eq_u32_e32 vcc_lo, v2, v3
	v_mov_b32_e32 v3, v2
	s_or_b32 s0, vcc_lo, s0
	s_delay_alu instid0(SALU_CYCLE_1)
	s_and_not1_b32 exec_lo, exec_lo, s0
	s_cbranch_execnz .LBB50_5
.LBB50_6:
	s_endpgm
	.section	.rodata,"a",@progbits
	.p2align	6, 0x0
	.amdhsa_kernel _ZN9rocsparseL17coomvt_aos_kernelILj1024ElDF16_DF16_ffEEv20rocsparse_operation_lNS_24const_host_device_scalarIT4_EEPKT0_PKT1_PKT2_PT3_21rocsparse_index_base_b
		.amdhsa_group_segment_fixed_size 0
		.amdhsa_private_segment_fixed_size 0
		.amdhsa_kernarg_size 320
		.amdhsa_user_sgpr_count 15
		.amdhsa_user_sgpr_dispatch_ptr 0
		.amdhsa_user_sgpr_queue_ptr 0
		.amdhsa_user_sgpr_kernarg_segment_ptr 1
		.amdhsa_user_sgpr_dispatch_id 0
		.amdhsa_user_sgpr_private_segment_size 0
		.amdhsa_wavefront_size32 1
		.amdhsa_uses_dynamic_stack 0
		.amdhsa_enable_private_segment 0
		.amdhsa_system_sgpr_workgroup_id_x 1
		.amdhsa_system_sgpr_workgroup_id_y 0
		.amdhsa_system_sgpr_workgroup_id_z 0
		.amdhsa_system_sgpr_workgroup_info 0
		.amdhsa_system_vgpr_workitem_id 0
		.amdhsa_next_free_vgpr 7
		.amdhsa_next_free_sgpr 16
		.amdhsa_reserve_vcc 1
		.amdhsa_float_round_mode_32 0
		.amdhsa_float_round_mode_16_64 0
		.amdhsa_float_denorm_mode_32 3
		.amdhsa_float_denorm_mode_16_64 3
		.amdhsa_dx10_clamp 1
		.amdhsa_ieee_mode 1
		.amdhsa_fp16_overflow 0
		.amdhsa_workgroup_processor_mode 1
		.amdhsa_memory_ordered 1
		.amdhsa_forward_progress 0
		.amdhsa_shared_vgpr_count 0
		.amdhsa_exception_fp_ieee_invalid_op 0
		.amdhsa_exception_fp_denorm_src 0
		.amdhsa_exception_fp_ieee_div_zero 0
		.amdhsa_exception_fp_ieee_overflow 0
		.amdhsa_exception_fp_ieee_underflow 0
		.amdhsa_exception_fp_ieee_inexact 0
		.amdhsa_exception_int_div_zero 0
	.end_amdhsa_kernel
	.section	.text._ZN9rocsparseL17coomvt_aos_kernelILj1024ElDF16_DF16_ffEEv20rocsparse_operation_lNS_24const_host_device_scalarIT4_EEPKT0_PKT1_PKT2_PT3_21rocsparse_index_base_b,"axG",@progbits,_ZN9rocsparseL17coomvt_aos_kernelILj1024ElDF16_DF16_ffEEv20rocsparse_operation_lNS_24const_host_device_scalarIT4_EEPKT0_PKT1_PKT2_PT3_21rocsparse_index_base_b,comdat
.Lfunc_end50:
	.size	_ZN9rocsparseL17coomvt_aos_kernelILj1024ElDF16_DF16_ffEEv20rocsparse_operation_lNS_24const_host_device_scalarIT4_EEPKT0_PKT1_PKT2_PT3_21rocsparse_index_base_b, .Lfunc_end50-_ZN9rocsparseL17coomvt_aos_kernelILj1024ElDF16_DF16_ffEEv20rocsparse_operation_lNS_24const_host_device_scalarIT4_EEPKT0_PKT1_PKT2_PT3_21rocsparse_index_base_b
                                        ; -- End function
	.section	.AMDGPU.csdata,"",@progbits
; Kernel info:
; codeLenInByte = 380
; NumSgprs: 18
; NumVgprs: 7
; ScratchSize: 0
; MemoryBound: 0
; FloatMode: 240
; IeeeMode: 1
; LDSByteSize: 0 bytes/workgroup (compile time only)
; SGPRBlocks: 2
; VGPRBlocks: 0
; NumSGPRsForWavesPerEU: 18
; NumVGPRsForWavesPerEU: 7
; Occupancy: 16
; WaveLimiterHint : 1
; COMPUTE_PGM_RSRC2:SCRATCH_EN: 0
; COMPUTE_PGM_RSRC2:USER_SGPR: 15
; COMPUTE_PGM_RSRC2:TRAP_HANDLER: 0
; COMPUTE_PGM_RSRC2:TGID_X_EN: 1
; COMPUTE_PGM_RSRC2:TGID_Y_EN: 0
; COMPUTE_PGM_RSRC2:TGID_Z_EN: 0
; COMPUTE_PGM_RSRC2:TIDIG_COMP_CNT: 0
	.section	.text._ZN9rocsparseL26coomvn_aos_segmented_loopsILj256ElDF16_DF16_ffEEvlT0_NS_24const_host_device_scalarIT4_EEPKS1_PKT1_PKT2_PT3_PS1_PS3_21rocsparse_index_base_b,"axG",@progbits,_ZN9rocsparseL26coomvn_aos_segmented_loopsILj256ElDF16_DF16_ffEEvlT0_NS_24const_host_device_scalarIT4_EEPKS1_PKT1_PKT2_PT3_PS1_PS3_21rocsparse_index_base_b,comdat
	.globl	_ZN9rocsparseL26coomvn_aos_segmented_loopsILj256ElDF16_DF16_ffEEvlT0_NS_24const_host_device_scalarIT4_EEPKS1_PKT1_PKT2_PT3_PS1_PS3_21rocsparse_index_base_b ; -- Begin function _ZN9rocsparseL26coomvn_aos_segmented_loopsILj256ElDF16_DF16_ffEEvlT0_NS_24const_host_device_scalarIT4_EEPKS1_PKT1_PKT2_PT3_PS1_PS3_21rocsparse_index_base_b
	.p2align	8
	.type	_ZN9rocsparseL26coomvn_aos_segmented_loopsILj256ElDF16_DF16_ffEEvlT0_NS_24const_host_device_scalarIT4_EEPKS1_PKT1_PKT2_PT3_PS1_PS3_21rocsparse_index_base_b,@function
_ZN9rocsparseL26coomvn_aos_segmented_loopsILj256ElDF16_DF16_ffEEvlT0_NS_24const_host_device_scalarIT4_EEPKS1_PKT1_PKT2_PT3_PS1_PS3_21rocsparse_index_base_b: ; @_ZN9rocsparseL26coomvn_aos_segmented_loopsILj256ElDF16_DF16_ffEEvlT0_NS_24const_host_device_scalarIT4_EEPKS1_PKT1_PKT2_PT3_PS1_PS3_21rocsparse_index_base_b
; %bb.0:
	s_clause 0x1
	s_load_b64 s[28:29], s[0:1], 0x48
	s_load_b64 s[26:27], s[0:1], 0x10
	s_mov_b32 s24, s15
	s_waitcnt lgkmcnt(0)
	s_bitcmp1_b32 s29, 0
	s_cselect_b32 s2, -1, 0
	s_delay_alu instid0(SALU_CYCLE_1)
	s_and_b32 vcc_lo, exec_lo, s2
	s_cbranch_vccnz .LBB51_2
; %bb.1:
	s_load_b32 s26, s[26:27], 0x0
.LBB51_2:
	s_waitcnt lgkmcnt(0)
	v_cmp_eq_f32_e64 s2, s26, 0
	s_mov_b32 s25, 0
	s_delay_alu instid0(VALU_DEP_1)
	s_and_b32 vcc_lo, exec_lo, s2
	s_cbranch_vccnz .LBB51_89
; %bb.3:
	s_clause 0x2
	s_load_b128 s[16:19], s[0:1], 0x0
	s_load_b128 s[20:23], s[0:1], 0x18
	s_load_b64 s[36:37], s[0:1], 0x28
	v_mov_b32_e32 v1, -1
	v_dual_mov_b32 v2, -1 :: v_dual_mov_b32 v15, 0
	s_waitcnt lgkmcnt(0)
	s_mul_i32 s3, s24, s19
	s_mul_hi_u32 s4, s24, s18
	s_mul_i32 s2, s24, s18
	s_add_i32 s3, s4, s3
	s_delay_alu instid0(SALU_CYCLE_1) | instskip(NEXT) | instid1(SALU_CYCLE_1)
	s_lshl_b64 s[2:3], s[2:3], 8
	v_mov_b32_e32 v4, s3
	v_or_b32_e32 v3, s2, v0
	s_mov_b32 s2, exec_lo
	s_delay_alu instid0(VALU_DEP_1)
	v_cmpx_gt_i64_e64 s[16:17], v[3:4]
	s_cbranch_execz .LBB51_5
; %bb.4:
	v_lshlrev_b64 v[1:2], 4, v[3:4]
	s_ashr_i32 s29, s28, 31
	s_delay_alu instid0(SALU_CYCLE_1) | instskip(NEXT) | instid1(VALU_DEP_1)
	s_lshl_b64 s[4:5], s[28:29], 1
	v_add_co_u32 v1, vcc_lo, s20, v1
	s_delay_alu instid0(VALU_DEP_2) | instskip(SKIP_4) | instid1(VALU_DEP_2)
	v_add_co_ci_u32_e32 v2, vcc_lo, s21, v2, vcc_lo
	global_load_b128 v[5:8], v[1:2], off slc dlc
	s_waitcnt vmcnt(0)
	v_lshlrev_b64 v[1:2], 1, v[7:8]
	v_lshlrev_b64 v[7:8], 1, v[3:4]
	v_add_co_u32 v9, vcc_lo, s36, v1
	s_delay_alu instid0(VALU_DEP_3) | instskip(NEXT) | instid1(VALU_DEP_3)
	v_add_co_ci_u32_e32 v10, vcc_lo, s37, v2, vcc_lo
	v_add_co_u32 v1, vcc_lo, s22, v7
	s_delay_alu instid0(VALU_DEP_4) | instskip(NEXT) | instid1(VALU_DEP_4)
	v_add_co_ci_u32_e32 v2, vcc_lo, s23, v8, vcc_lo
	v_sub_co_u32 v7, vcc_lo, v9, s4
	s_delay_alu instid0(VALU_DEP_4)
	v_subrev_co_ci_u32_e32 v8, vcc_lo, s5, v10, vcc_lo
	global_load_u16 v1, v[1:2], off
	global_load_u16 v2, v[7:8], off
	s_waitcnt vmcnt(1)
	v_cvt_f32_f16_e32 v7, v1
	s_waitcnt vmcnt(0)
	v_cvt_f32_f16_e32 v8, v2
	v_sub_co_u32 v1, vcc_lo, v5, s28
	v_subrev_co_ci_u32_e32 v2, vcc_lo, 0, v6, vcc_lo
	s_delay_alu instid0(VALU_DEP_3)
	v_mul_f32_e32 v15, v7, v8
.LBB51_5:
	s_or_b32 exec_lo, exec_lo, s2
	v_lshlrev_b32_e32 v5, 2, v0
	v_lshlrev_b32_e32 v11, 3, v0
	v_cmp_eq_u32_e64 s2, 0, v0
	v_cmp_ne_u32_e64 s3, 0, v0
	ds_store_b64 v11, v[1:2]
	ds_store_b32 v5, v15 offset:2048
	v_or_b32_e32 v12, 0x800, v5
	v_add_nc_u32_e32 v13, -8, v11
	s_waitcnt lgkmcnt(0)
	s_barrier
	buffer_gl0_inv
	s_and_saveexec_b32 s4, s3
	s_cbranch_execz .LBB51_9
; %bb.6:
	ds_load_b64 v[5:6], v13
	s_mov_b32 s5, exec_lo
	s_waitcnt lgkmcnt(0)
	v_cmpx_eq_u64_e64 v[1:2], v[5:6]
	s_cbranch_execz .LBB51_8
; %bb.7:
	v_add_nc_u32_e32 v5, -4, v12
	ds_load_b32 v5, v5
	s_waitcnt lgkmcnt(0)
	v_add_f32_e32 v15, v15, v5
.LBB51_8:
	s_or_b32 exec_lo, exec_lo, s5
.LBB51_9:
	s_delay_alu instid0(SALU_CYCLE_1)
	s_or_b32 exec_lo, exec_lo, s4
	v_cmp_lt_u32_e64 s4, 1, v0
	v_add_nc_u32_e32 v14, -16, v11
	s_barrier
	buffer_gl0_inv
	ds_store_b32 v12, v15
	s_waitcnt lgkmcnt(0)
	s_barrier
	buffer_gl0_inv
	s_and_saveexec_b32 s5, s4
	s_cbranch_execz .LBB51_13
; %bb.10:
	ds_load_b64 v[5:6], v14
	s_mov_b32 s6, exec_lo
	s_waitcnt lgkmcnt(0)
	v_cmpx_eq_u64_e64 v[1:2], v[5:6]
	s_cbranch_execz .LBB51_12
; %bb.11:
	v_add_nc_u32_e32 v5, -8, v12
	ds_load_b32 v5, v5
	s_waitcnt lgkmcnt(0)
	v_add_f32_e32 v15, v15, v5
.LBB51_12:
	s_or_b32 exec_lo, exec_lo, s6
.LBB51_13:
	s_delay_alu instid0(SALU_CYCLE_1)
	s_or_b32 exec_lo, exec_lo, s5
	v_cmp_lt_u32_e64 s5, 3, v0
	v_subrev_nc_u32_e32 v16, 32, v11
	s_barrier
	buffer_gl0_inv
	ds_store_b32 v12, v15
	s_waitcnt lgkmcnt(0)
	s_barrier
	buffer_gl0_inv
	s_and_saveexec_b32 s6, s5
	s_cbranch_execz .LBB51_17
; %bb.14:
	ds_load_b64 v[5:6], v16
	s_mov_b32 s7, exec_lo
	s_waitcnt lgkmcnt(0)
	v_cmpx_eq_u64_e64 v[1:2], v[5:6]
	s_cbranch_execz .LBB51_16
; %bb.15:
	v_add_nc_u32_e32 v5, -16, v12
	ds_load_b32 v5, v5
	s_waitcnt lgkmcnt(0)
	v_add_f32_e32 v15, v15, v5
.LBB51_16:
	s_or_b32 exec_lo, exec_lo, s7
.LBB51_17:
	s_delay_alu instid0(SALU_CYCLE_1)
	s_or_b32 exec_lo, exec_lo, s6
	v_cmp_lt_u32_e64 s6, 7, v0
	v_subrev_nc_u32_e32 v17, 64, v11
	s_barrier
	buffer_gl0_inv
	ds_store_b32 v12, v15
	s_waitcnt lgkmcnt(0)
	s_barrier
	buffer_gl0_inv
	s_and_saveexec_b32 s7, s6
	s_cbranch_execz .LBB51_21
; %bb.18:
	ds_load_b64 v[5:6], v17
	s_mov_b32 s8, exec_lo
	s_waitcnt lgkmcnt(0)
	v_cmpx_eq_u64_e64 v[1:2], v[5:6]
	s_cbranch_execz .LBB51_20
; %bb.19:
	v_subrev_nc_u32_e32 v5, 32, v12
	ds_load_b32 v5, v5
	s_waitcnt lgkmcnt(0)
	v_add_f32_e32 v15, v15, v5
.LBB51_20:
	s_or_b32 exec_lo, exec_lo, s8
.LBB51_21:
	s_delay_alu instid0(SALU_CYCLE_1)
	s_or_b32 exec_lo, exec_lo, s7
	v_cmp_lt_u32_e64 s7, 15, v0
	v_add_nc_u32_e32 v18, 0xffffff80, v11
	s_barrier
	buffer_gl0_inv
	ds_store_b32 v12, v15
	s_waitcnt lgkmcnt(0)
	s_barrier
	buffer_gl0_inv
	s_and_saveexec_b32 s8, s7
	s_cbranch_execz .LBB51_25
; %bb.22:
	ds_load_b64 v[5:6], v18
	s_mov_b32 s9, exec_lo
	s_waitcnt lgkmcnt(0)
	v_cmpx_eq_u64_e64 v[1:2], v[5:6]
	s_cbranch_execz .LBB51_24
; %bb.23:
	v_subrev_nc_u32_e32 v5, 64, v12
	ds_load_b32 v5, v5
	s_waitcnt lgkmcnt(0)
	v_add_f32_e32 v15, v15, v5
.LBB51_24:
	s_or_b32 exec_lo, exec_lo, s9
.LBB51_25:
	s_delay_alu instid0(SALU_CYCLE_1)
	s_or_b32 exec_lo, exec_lo, s8
	v_cmp_lt_u32_e64 s8, 31, v0
	v_add_nc_u32_e32 v19, 0xffffff00, v11
	s_barrier
	buffer_gl0_inv
	ds_store_b32 v12, v15
	s_waitcnt lgkmcnt(0)
	s_barrier
	buffer_gl0_inv
	s_and_saveexec_b32 s9, s8
	s_cbranch_execz .LBB51_29
; %bb.26:
	ds_load_b64 v[5:6], v19
	s_mov_b32 s10, exec_lo
	s_waitcnt lgkmcnt(0)
	v_cmpx_eq_u64_e64 v[1:2], v[5:6]
	s_cbranch_execz .LBB51_28
; %bb.27:
	v_add_nc_u32_e32 v5, 0xffffff80, v12
	ds_load_b32 v5, v5
	s_waitcnt lgkmcnt(0)
	v_add_f32_e32 v15, v15, v5
.LBB51_28:
	s_or_b32 exec_lo, exec_lo, s10
.LBB51_29:
	s_delay_alu instid0(SALU_CYCLE_1)
	s_or_b32 exec_lo, exec_lo, s9
	v_cmp_lt_u32_e64 s9, 63, v0
	v_add_nc_u32_e32 v20, 0xfffffe00, v11
	s_barrier
	buffer_gl0_inv
	ds_store_b32 v12, v15
	s_waitcnt lgkmcnt(0)
	s_barrier
	buffer_gl0_inv
	s_and_saveexec_b32 s10, s9
	s_cbranch_execz .LBB51_33
; %bb.30:
	ds_load_b64 v[5:6], v20
	s_mov_b32 s11, exec_lo
	s_waitcnt lgkmcnt(0)
	v_cmpx_eq_u64_e64 v[1:2], v[5:6]
	s_cbranch_execz .LBB51_32
; %bb.31:
	v_add_nc_u32_e32 v5, 0xffffff00, v12
	ds_load_b32 v5, v5
	s_waitcnt lgkmcnt(0)
	v_add_f32_e32 v15, v15, v5
.LBB51_32:
	s_or_b32 exec_lo, exec_lo, s11
.LBB51_33:
	s_delay_alu instid0(SALU_CYCLE_1)
	s_or_b32 exec_lo, exec_lo, s10
	s_load_b64 s[30:31], s[0:1], 0x30
	v_cmp_lt_u32_e64 s10, 0x7f, v0
	v_add_nc_u32_e32 v21, 0xfffffc00, v11
	s_waitcnt lgkmcnt(0)
	s_barrier
	buffer_gl0_inv
	ds_store_b32 v12, v15
	s_waitcnt lgkmcnt(0)
	s_barrier
	buffer_gl0_inv
	s_and_saveexec_b32 s11, s10
	s_cbranch_execz .LBB51_37
; %bb.34:
	ds_load_b64 v[5:6], v21
	s_mov_b32 s12, exec_lo
	s_waitcnt lgkmcnt(0)
	v_cmpx_eq_u64_e64 v[1:2], v[5:6]
	s_cbranch_execz .LBB51_36
; %bb.35:
	v_add_nc_u32_e32 v5, 0xfffffe00, v12
	ds_load_b32 v5, v5
	s_waitcnt lgkmcnt(0)
	v_add_f32_e32 v15, v15, v5
.LBB51_36:
	s_or_b32 exec_lo, exec_lo, s12
.LBB51_37:
	s_delay_alu instid0(SALU_CYCLE_1)
	s_or_b32 exec_lo, exec_lo, s11
	v_cmp_gt_u32_e64 s11, 0xff, v0
	s_barrier
	buffer_gl0_inv
	ds_store_b32 v12, v15
	s_waitcnt lgkmcnt(0)
	s_barrier
	buffer_gl0_inv
	s_and_saveexec_b32 s13, s11
	s_cbranch_execz .LBB51_40
; %bb.38:
	ds_load_b64 v[5:6], v11 offset:8
	v_cmp_lt_i64_e64 s12, -1, v[1:2]
	s_waitcnt lgkmcnt(0)
	v_cmp_ne_u64_e32 vcc_lo, v[1:2], v[5:6]
	s_delay_alu instid0(VALU_DEP_2) | instskip(NEXT) | instid1(SALU_CYCLE_1)
	s_and_b32 s12, s12, vcc_lo
	s_and_b32 exec_lo, exec_lo, s12
	s_cbranch_execz .LBB51_40
; %bb.39:
	v_lshlrev_b64 v[5:6], 2, v[1:2]
	s_delay_alu instid0(VALU_DEP_1) | instskip(NEXT) | instid1(VALU_DEP_2)
	v_add_co_u32 v5, vcc_lo, s30, v5
	v_add_co_ci_u32_e32 v6, vcc_lo, s31, v6, vcc_lo
	global_load_b32 v7, v[5:6], off
	s_waitcnt vmcnt(0)
	v_fmac_f32_e32 v7, s26, v15
	global_store_b32 v[5:6], v7, off
.LBB51_40:
	s_or_b32 exec_lo, exec_lo, s13
	s_load_b128 s[12:15], s[0:1], 0x38
	v_cmp_lt_i64_e64 s0, s[18:19], 2
	s_delay_alu instid0(VALU_DEP_1)
	s_and_b32 vcc_lo, exec_lo, s0
	s_cbranch_vccnz .LBB51_87
; %bb.41:
	s_add_u32 s34, s18, -1
	s_addc_u32 s35, s19, -1
	s_ashr_i32 s29, s28, 31
	s_mul_i32 s0, s19, s24
	s_lshl_b64 s[38:39], s[28:29], 1
	s_mul_hi_u32 s19, s18, s24
	s_sub_u32 s1, s36, s38
	s_subb_u32 s27, s37, s39
	s_add_i32 s19, s19, s0
	s_mul_i32 s18, s18, s24
	v_lshlrev_b32_e32 v1, 1, v0
	s_lshl_b64 s[36:37], s[18:19], 9
	v_lshlrev_b32_e32 v2, 4, v0
	s_add_u32 s0, s22, s36
	s_addc_u32 s22, s23, s37
	s_lshl_b64 s[18:19], s[18:19], 12
	v_add_co_u32 v1, s0, s0, v1
	s_delay_alu instid0(VALU_DEP_1) | instskip(SKIP_3) | instid1(VALU_DEP_1)
	v_add_co_ci_u32_e64 v6, null, s22, 0, s0
	s_add_u32 s0, s20, s18
	s_addc_u32 s18, s21, s19
	v_add_co_u32 v2, s0, s0, v2
	v_add_co_ci_u32_e64 v8, null, s18, 0, s0
	v_add_co_u32 v5, vcc_lo, 0x200, v1
	v_add_co_ci_u32_e32 v6, vcc_lo, 0, v6, vcc_lo
	s_delay_alu instid0(VALU_DEP_4) | instskip(NEXT) | instid1(VALU_DEP_4)
	v_add_co_u32 v7, vcc_lo, 0x1008, v2
	v_add_co_ci_u32_e32 v8, vcc_lo, 0, v8, vcc_lo
	v_add_co_u32 v3, vcc_lo, 0x100, v3
	v_add_nc_u32_e32 v22, -4, v12
	v_dual_mov_b32 v30, 0 :: v_dual_add_nc_u32 v23, -8, v12
	v_add_nc_u32_e32 v24, -16, v12
	v_subrev_nc_u32_e32 v25, 32, v12
	v_subrev_nc_u32_e32 v26, 64, v12
	v_add_nc_u32_e32 v27, 0xffffff80, v12
	v_add_nc_u32_e32 v28, 0xffffff00, v12
	;; [unrolled: 1-line block ×3, first 2 shown]
	v_add_co_ci_u32_e32 v4, vcc_lo, 0, v4, vcc_lo
	s_mov_b64 s[18:19], 0
	s_branch .LBB51_43
.LBB51_42:                              ;   in Loop: Header=BB51_43 Depth=1
	s_or_b32 exec_lo, exec_lo, s20
	v_add_co_u32 v5, vcc_lo, 0x200, v5
	s_add_u32 s18, s18, 1
	v_add_co_ci_u32_e32 v6, vcc_lo, 0, v6, vcc_lo
	s_addc_u32 s19, s19, 0
	v_add_co_u32 v7, vcc_lo, 0x1000, v7
	v_cmp_le_u64_e64 s0, s[34:35], s[18:19]
	v_add_co_ci_u32_e32 v8, vcc_lo, 0, v8, vcc_lo
	v_add_co_u32 v3, vcc_lo, 0x100, v3
	v_add_co_ci_u32_e32 v4, vcc_lo, 0, v4, vcc_lo
	s_delay_alu instid0(VALU_DEP_4)
	s_and_b32 vcc_lo, exec_lo, s0
	s_cbranch_vccnz .LBB51_87
.LBB51_43:                              ; =>This Inner Loop Header: Depth=1
	v_mov_b32_e32 v1, -1
	v_dual_mov_b32 v2, -1 :: v_dual_mov_b32 v15, 0
	s_mov_b32 s0, exec_lo
	v_cmpx_gt_i64_e64 s[16:17], v[3:4]
	s_cbranch_execz .LBB51_45
; %bb.44:                               ;   in Loop: Header=BB51_43 Depth=1
	global_load_b128 v[31:34], v[7:8], off offset:-8 slc dlc
	s_waitcnt vmcnt(0)
	v_lshlrev_b64 v[1:2], 1, v[33:34]
	s_delay_alu instid0(VALU_DEP_1) | instskip(NEXT) | instid1(VALU_DEP_2)
	v_add_co_u32 v1, vcc_lo, s1, v1
	v_add_co_ci_u32_e32 v2, vcc_lo, s27, v2, vcc_lo
	global_load_u16 v9, v[5:6], off
	global_load_u16 v1, v[1:2], off
	s_waitcnt vmcnt(1)
	v_cvt_f32_f16_e32 v9, v9
	s_waitcnt vmcnt(0)
	v_cvt_f32_f16_e32 v10, v1
	v_sub_co_u32 v1, vcc_lo, v31, s28
	v_subrev_co_ci_u32_e32 v2, vcc_lo, 0, v32, vcc_lo
	s_delay_alu instid0(VALU_DEP_3)
	v_mul_f32_e32 v15, v9, v10
.LBB51_45:                              ;   in Loop: Header=BB51_43 Depth=1
	s_or_b32 exec_lo, exec_lo, s0
	s_and_saveexec_b32 s0, s2
	s_cbranch_execz .LBB51_52
; %bb.46:                               ;   in Loop: Header=BB51_43 Depth=1
	ds_load_b64 v[9:10], v30 offset:2040
	s_mov_b32 s20, exec_lo
	s_waitcnt lgkmcnt(0)
	v_cmpx_ne_u64_e64 v[1:2], v[9:10]
	s_xor_b32 s20, exec_lo, s20
	s_cbranch_execz .LBB51_49
; %bb.47:                               ;   in Loop: Header=BB51_43 Depth=1
	v_cmp_gt_i64_e32 vcc_lo, 0, v[9:10]
	s_cbranch_vccnz .LBB51_49
; %bb.48:                               ;   in Loop: Header=BB51_43 Depth=1
	v_lshlrev_b64 v[9:10], 2, v[9:10]
	ds_load_b32 v32, v30 offset:3068
	v_add_co_u32 v9, vcc_lo, s30, v9
	v_add_co_ci_u32_e32 v10, vcc_lo, s31, v10, vcc_lo
	global_load_b32 v31, v[9:10], off
	s_waitcnt vmcnt(0) lgkmcnt(0)
	v_fmac_f32_e32 v31, s26, v32
	global_store_b32 v[9:10], v31, off
.LBB51_49:                              ;   in Loop: Header=BB51_43 Depth=1
	s_and_not1_saveexec_b32 s20, s20
	s_cbranch_execz .LBB51_51
; %bb.50:                               ;   in Loop: Header=BB51_43 Depth=1
	ds_load_b32 v9, v30 offset:3068
	s_waitcnt lgkmcnt(0)
	v_add_f32_e32 v15, v15, v9
.LBB51_51:                              ;   in Loop: Header=BB51_43 Depth=1
	s_or_b32 exec_lo, exec_lo, s20
.LBB51_52:                              ;   in Loop: Header=BB51_43 Depth=1
	s_delay_alu instid0(SALU_CYCLE_1)
	s_or_b32 exec_lo, exec_lo, s0
	s_waitcnt lgkmcnt(0)
	s_waitcnt_vscnt null, 0x0
	s_barrier
	buffer_gl0_inv
	ds_store_b64 v11, v[1:2]
	ds_store_b32 v12, v15
	s_waitcnt lgkmcnt(0)
	s_barrier
	buffer_gl0_inv
	s_and_saveexec_b32 s0, s3
	s_cbranch_execz .LBB51_56
; %bb.53:                               ;   in Loop: Header=BB51_43 Depth=1
	ds_load_b64 v[9:10], v13
	s_mov_b32 s20, exec_lo
	s_waitcnt lgkmcnt(0)
	v_cmpx_eq_u64_e64 v[1:2], v[9:10]
	s_cbranch_execz .LBB51_55
; %bb.54:                               ;   in Loop: Header=BB51_43 Depth=1
	ds_load_b32 v9, v22
	s_waitcnt lgkmcnt(0)
	v_add_f32_e32 v15, v15, v9
.LBB51_55:                              ;   in Loop: Header=BB51_43 Depth=1
	s_or_b32 exec_lo, exec_lo, s20
.LBB51_56:                              ;   in Loop: Header=BB51_43 Depth=1
	s_delay_alu instid0(SALU_CYCLE_1)
	s_or_b32 exec_lo, exec_lo, s0
	s_barrier
	buffer_gl0_inv
	ds_store_b32 v12, v15
	s_waitcnt lgkmcnt(0)
	s_barrier
	buffer_gl0_inv
	s_and_saveexec_b32 s0, s4
	s_cbranch_execz .LBB51_60
; %bb.57:                               ;   in Loop: Header=BB51_43 Depth=1
	ds_load_b64 v[9:10], v14
	s_mov_b32 s20, exec_lo
	s_waitcnt lgkmcnt(0)
	v_cmpx_eq_u64_e64 v[1:2], v[9:10]
	s_cbranch_execz .LBB51_59
; %bb.58:                               ;   in Loop: Header=BB51_43 Depth=1
	ds_load_b32 v9, v23
	s_waitcnt lgkmcnt(0)
	v_add_f32_e32 v15, v15, v9
.LBB51_59:                              ;   in Loop: Header=BB51_43 Depth=1
	s_or_b32 exec_lo, exec_lo, s20
.LBB51_60:                              ;   in Loop: Header=BB51_43 Depth=1
	s_delay_alu instid0(SALU_CYCLE_1)
	s_or_b32 exec_lo, exec_lo, s0
	s_barrier
	buffer_gl0_inv
	;; [unrolled: 23-line block ×8, first 2 shown]
	ds_store_b32 v12, v15
	s_waitcnt lgkmcnt(0)
	s_barrier
	buffer_gl0_inv
	s_and_saveexec_b32 s20, s11
	s_cbranch_execz .LBB51_42
; %bb.85:                               ;   in Loop: Header=BB51_43 Depth=1
	ds_load_b64 v[9:10], v11 offset:8
	v_cmp_lt_i64_e64 s0, -1, v[1:2]
	s_waitcnt lgkmcnt(0)
	v_cmp_ne_u64_e32 vcc_lo, v[1:2], v[9:10]
	s_delay_alu instid0(VALU_DEP_2) | instskip(NEXT) | instid1(SALU_CYCLE_1)
	s_and_b32 s0, s0, vcc_lo
	s_and_b32 exec_lo, exec_lo, s0
	s_cbranch_execz .LBB51_42
; %bb.86:                               ;   in Loop: Header=BB51_43 Depth=1
	v_lshlrev_b64 v[9:10], 2, v[1:2]
	s_delay_alu instid0(VALU_DEP_1) | instskip(NEXT) | instid1(VALU_DEP_2)
	v_add_co_u32 v9, vcc_lo, s30, v9
	v_add_co_ci_u32_e32 v10, vcc_lo, s31, v10, vcc_lo
	global_load_b32 v31, v[9:10], off
	s_waitcnt vmcnt(0)
	v_fmac_f32_e32 v31, s26, v15
	global_store_b32 v[9:10], v31, off
	s_branch .LBB51_42
.LBB51_87:
	s_mov_b32 s0, exec_lo
	v_cmpx_eq_u32_e32 0xff, v0
	s_cbranch_execz .LBB51_89
; %bb.88:
	s_lshl_b64 s[0:1], s[24:25], 3
	v_dual_mov_b32 v0, 0 :: v_dual_mul_f32 v3, s26, v15
	s_waitcnt lgkmcnt(0)
	s_add_u32 s0, s12, s0
	s_addc_u32 s1, s13, s1
	s_lshl_b64 s[2:3], s[24:25], 2
	s_delay_alu instid0(SALU_CYCLE_1)
	s_add_u32 s2, s14, s2
	s_addc_u32 s3, s15, s3
	s_clause 0x1
	global_store_b64 v0, v[1:2], s[0:1] glc slc dlc
	global_store_b32 v0, v3, s[2:3] glc slc dlc
.LBB51_89:
	s_nop 0
	s_sendmsg sendmsg(MSG_DEALLOC_VGPRS)
	s_endpgm
	.section	.rodata,"a",@progbits
	.p2align	6, 0x0
	.amdhsa_kernel _ZN9rocsparseL26coomvn_aos_segmented_loopsILj256ElDF16_DF16_ffEEvlT0_NS_24const_host_device_scalarIT4_EEPKS1_PKT1_PKT2_PT3_PS1_PS3_21rocsparse_index_base_b
		.amdhsa_group_segment_fixed_size 3072
		.amdhsa_private_segment_fixed_size 0
		.amdhsa_kernarg_size 80
		.amdhsa_user_sgpr_count 15
		.amdhsa_user_sgpr_dispatch_ptr 0
		.amdhsa_user_sgpr_queue_ptr 0
		.amdhsa_user_sgpr_kernarg_segment_ptr 1
		.amdhsa_user_sgpr_dispatch_id 0
		.amdhsa_user_sgpr_private_segment_size 0
		.amdhsa_wavefront_size32 1
		.amdhsa_uses_dynamic_stack 0
		.amdhsa_enable_private_segment 0
		.amdhsa_system_sgpr_workgroup_id_x 1
		.amdhsa_system_sgpr_workgroup_id_y 0
		.amdhsa_system_sgpr_workgroup_id_z 0
		.amdhsa_system_sgpr_workgroup_info 0
		.amdhsa_system_vgpr_workitem_id 0
		.amdhsa_next_free_vgpr 35
		.amdhsa_next_free_sgpr 40
		.amdhsa_reserve_vcc 1
		.amdhsa_float_round_mode_32 0
		.amdhsa_float_round_mode_16_64 0
		.amdhsa_float_denorm_mode_32 3
		.amdhsa_float_denorm_mode_16_64 3
		.amdhsa_dx10_clamp 1
		.amdhsa_ieee_mode 1
		.amdhsa_fp16_overflow 0
		.amdhsa_workgroup_processor_mode 1
		.amdhsa_memory_ordered 1
		.amdhsa_forward_progress 0
		.amdhsa_shared_vgpr_count 0
		.amdhsa_exception_fp_ieee_invalid_op 0
		.amdhsa_exception_fp_denorm_src 0
		.amdhsa_exception_fp_ieee_div_zero 0
		.amdhsa_exception_fp_ieee_overflow 0
		.amdhsa_exception_fp_ieee_underflow 0
		.amdhsa_exception_fp_ieee_inexact 0
		.amdhsa_exception_int_div_zero 0
	.end_amdhsa_kernel
	.section	.text._ZN9rocsparseL26coomvn_aos_segmented_loopsILj256ElDF16_DF16_ffEEvlT0_NS_24const_host_device_scalarIT4_EEPKS1_PKT1_PKT2_PT3_PS1_PS3_21rocsparse_index_base_b,"axG",@progbits,_ZN9rocsparseL26coomvn_aos_segmented_loopsILj256ElDF16_DF16_ffEEvlT0_NS_24const_host_device_scalarIT4_EEPKS1_PKT1_PKT2_PT3_PS1_PS3_21rocsparse_index_base_b,comdat
.Lfunc_end51:
	.size	_ZN9rocsparseL26coomvn_aos_segmented_loopsILj256ElDF16_DF16_ffEEvlT0_NS_24const_host_device_scalarIT4_EEPKS1_PKT1_PKT2_PT3_PS1_PS3_21rocsparse_index_base_b, .Lfunc_end51-_ZN9rocsparseL26coomvn_aos_segmented_loopsILj256ElDF16_DF16_ffEEvlT0_NS_24const_host_device_scalarIT4_EEPKS1_PKT1_PKT2_PT3_PS1_PS3_21rocsparse_index_base_b
                                        ; -- End function
	.section	.AMDGPU.csdata,"",@progbits
; Kernel info:
; codeLenInByte = 3108
; NumSgprs: 42
; NumVgprs: 35
; ScratchSize: 0
; MemoryBound: 0
; FloatMode: 240
; IeeeMode: 1
; LDSByteSize: 3072 bytes/workgroup (compile time only)
; SGPRBlocks: 5
; VGPRBlocks: 4
; NumSGPRsForWavesPerEU: 42
; NumVGPRsForWavesPerEU: 35
; Occupancy: 16
; WaveLimiterHint : 1
; COMPUTE_PGM_RSRC2:SCRATCH_EN: 0
; COMPUTE_PGM_RSRC2:USER_SGPR: 15
; COMPUTE_PGM_RSRC2:TRAP_HANDLER: 0
; COMPUTE_PGM_RSRC2:TGID_X_EN: 1
; COMPUTE_PGM_RSRC2:TGID_Y_EN: 0
; COMPUTE_PGM_RSRC2:TGID_Z_EN: 0
; COMPUTE_PGM_RSRC2:TIDIG_COMP_CNT: 0
	.section	.text._ZN9rocsparseL23coomvn_aos_atomic_loopsILj256ELj1Ei18rocsparse_bfloat16S1_ffEEvlNS_24const_host_device_scalarIT5_EEPKT1_PKT2_PKT3_PT4_21rocsparse_index_base_b,"axG",@progbits,_ZN9rocsparseL23coomvn_aos_atomic_loopsILj256ELj1Ei18rocsparse_bfloat16S1_ffEEvlNS_24const_host_device_scalarIT5_EEPKT1_PKT2_PKT3_PT4_21rocsparse_index_base_b,comdat
	.globl	_ZN9rocsparseL23coomvn_aos_atomic_loopsILj256ELj1Ei18rocsparse_bfloat16S1_ffEEvlNS_24const_host_device_scalarIT5_EEPKT1_PKT2_PKT3_PT4_21rocsparse_index_base_b ; -- Begin function _ZN9rocsparseL23coomvn_aos_atomic_loopsILj256ELj1Ei18rocsparse_bfloat16S1_ffEEvlNS_24const_host_device_scalarIT5_EEPKT1_PKT2_PKT3_PT4_21rocsparse_index_base_b
	.p2align	8
	.type	_ZN9rocsparseL23coomvn_aos_atomic_loopsILj256ELj1Ei18rocsparse_bfloat16S1_ffEEvlNS_24const_host_device_scalarIT5_EEPKT1_PKT2_PKT3_PT4_21rocsparse_index_base_b,@function
_ZN9rocsparseL23coomvn_aos_atomic_loopsILj256ELj1Ei18rocsparse_bfloat16S1_ffEEvlNS_24const_host_device_scalarIT5_EEPKT1_PKT2_PKT3_PT4_21rocsparse_index_base_b: ; @_ZN9rocsparseL23coomvn_aos_atomic_loopsILj256ELj1Ei18rocsparse_bfloat16S1_ffEEvlNS_24const_host_device_scalarIT5_EEPKT1_PKT2_PKT3_PT4_21rocsparse_index_base_b
; %bb.0:
	s_clause 0x1
	s_load_b64 s[2:3], s[0:1], 0x30
	s_load_b128 s[4:7], s[0:1], 0x0
	s_waitcnt lgkmcnt(0)
	s_bitcmp1_b32 s3, 0
	s_cselect_b32 s3, -1, 0
	s_delay_alu instid0(SALU_CYCLE_1)
	s_and_b32 vcc_lo, exec_lo, s3
	s_cbranch_vccnz .LBB52_2
; %bb.1:
	s_load_b32 s6, s[6:7], 0x0
.LBB52_2:
	s_waitcnt lgkmcnt(0)
	v_cmp_eq_f32_e64 s3, s6, 0
	s_delay_alu instid0(VALU_DEP_1)
	s_and_b32 vcc_lo, exec_lo, s3
	s_cbranch_vccnz .LBB52_44
; %bb.3:
	v_lshl_or_b32 v1, s15, 8, v0
	v_dual_mov_b32 v2, 0 :: v_dual_mov_b32 v3, -1
	s_mov_b32 s3, exec_lo
	s_delay_alu instid0(VALU_DEP_1)
	v_cmpx_gt_i64_e64 s[4:5], v[1:2]
	s_cbranch_execz .LBB52_5
; %bb.4:
	s_clause 0x1
	s_load_b128 s[8:11], s[0:1], 0x10
	s_load_b64 s[4:5], s[0:1], 0x20
	v_lshlrev_b64 v[3:4], 3, v[1:2]
	v_lshlrev_b64 v[1:2], 1, v[1:2]
	s_waitcnt lgkmcnt(0)
	s_delay_alu instid0(VALU_DEP_2) | instskip(NEXT) | instid1(VALU_DEP_3)
	v_add_co_u32 v3, vcc_lo, s8, v3
	v_add_co_ci_u32_e32 v4, vcc_lo, s9, v4, vcc_lo
	global_load_b64 v[3:4], v[3:4], off slc dlc
	s_waitcnt vmcnt(0)
	v_subrev_nc_u32_e32 v4, s2, v4
	v_subrev_nc_u32_e32 v3, s2, v3
	s_delay_alu instid0(VALU_DEP_2) | instskip(NEXT) | instid1(VALU_DEP_1)
	v_ashrrev_i32_e32 v5, 31, v4
	v_lshlrev_b64 v[4:5], 1, v[4:5]
	s_delay_alu instid0(VALU_DEP_1) | instskip(NEXT) | instid1(VALU_DEP_2)
	v_add_co_u32 v4, vcc_lo, s4, v4
	v_add_co_ci_u32_e32 v5, vcc_lo, s5, v5, vcc_lo
	v_add_co_u32 v1, vcc_lo, s10, v1
	v_add_co_ci_u32_e32 v2, vcc_lo, s11, v2, vcc_lo
	global_load_u16 v4, v[4:5], off
	global_load_u16 v1, v[1:2], off
	s_waitcnt vmcnt(1)
	v_lshlrev_b32_e32 v2, 16, v4
	s_waitcnt vmcnt(0)
	v_lshlrev_b32_e32 v1, 16, v1
	s_delay_alu instid0(VALU_DEP_1)
	v_mul_f32_e32 v2, v1, v2
.LBB52_5:
	s_or_b32 exec_lo, exec_lo, s3
	v_lshlrev_b32_e32 v1, 2, v0
	s_mov_b32 s2, exec_lo
	s_delay_alu instid0(VALU_DEP_1)
	v_or_b32_e32 v4, 0x400, v1
	ds_store_2addr_stride64_b32 v1, v3, v2 offset1:4
	s_waitcnt lgkmcnt(0)
	s_barrier
	buffer_gl0_inv
	v_cmpx_ne_u32_e32 0, v0
	s_cbranch_execz .LBB52_9
; %bb.6:
	v_add_nc_u32_e32 v5, -4, v1
	s_mov_b32 s3, exec_lo
	ds_load_b32 v5, v5
	s_waitcnt lgkmcnt(0)
	v_cmpx_eq_u32_e64 v3, v5
	s_cbranch_execz .LBB52_8
; %bb.7:
	v_add_nc_u32_e32 v5, -4, v4
	ds_load_b32 v5, v5
	s_waitcnt lgkmcnt(0)
	v_add_f32_e32 v2, v2, v5
.LBB52_8:
	s_or_b32 exec_lo, exec_lo, s3
.LBB52_9:
	s_delay_alu instid0(SALU_CYCLE_1) | instskip(NEXT) | instid1(SALU_CYCLE_1)
	s_or_b32 exec_lo, exec_lo, s2
	s_mov_b32 s2, exec_lo
	s_barrier
	buffer_gl0_inv
	ds_store_b32 v4, v2
	s_waitcnt lgkmcnt(0)
	s_barrier
	buffer_gl0_inv
	v_cmpx_lt_u32_e32 1, v0
	s_cbranch_execz .LBB52_13
; %bb.10:
	v_add_nc_u32_e32 v5, -8, v1
	s_mov_b32 s3, exec_lo
	ds_load_b32 v5, v5
	s_waitcnt lgkmcnt(0)
	v_cmpx_eq_u32_e64 v3, v5
	s_cbranch_execz .LBB52_12
; %bb.11:
	v_add_nc_u32_e32 v5, -8, v4
	ds_load_b32 v5, v5
	s_waitcnt lgkmcnt(0)
	v_add_f32_e32 v2, v2, v5
.LBB52_12:
	s_or_b32 exec_lo, exec_lo, s3
.LBB52_13:
	s_delay_alu instid0(SALU_CYCLE_1) | instskip(NEXT) | instid1(SALU_CYCLE_1)
	s_or_b32 exec_lo, exec_lo, s2
	s_mov_b32 s2, exec_lo
	s_barrier
	buffer_gl0_inv
	ds_store_b32 v4, v2
	s_waitcnt lgkmcnt(0)
	s_barrier
	buffer_gl0_inv
	v_cmpx_lt_u32_e32 3, v0
	;; [unrolled: 26-line block ×3, first 2 shown]
	s_cbranch_execz .LBB52_21
; %bb.18:
	v_subrev_nc_u32_e32 v5, 32, v1
	s_mov_b32 s3, exec_lo
	ds_load_b32 v5, v5
	s_waitcnt lgkmcnt(0)
	v_cmpx_eq_u32_e64 v3, v5
	s_cbranch_execz .LBB52_20
; %bb.19:
	v_subrev_nc_u32_e32 v5, 32, v4
	ds_load_b32 v5, v5
	s_waitcnt lgkmcnt(0)
	v_add_f32_e32 v2, v2, v5
.LBB52_20:
	s_or_b32 exec_lo, exec_lo, s3
.LBB52_21:
	s_delay_alu instid0(SALU_CYCLE_1) | instskip(NEXT) | instid1(SALU_CYCLE_1)
	s_or_b32 exec_lo, exec_lo, s2
	s_mov_b32 s2, exec_lo
	s_barrier
	buffer_gl0_inv
	ds_store_b32 v4, v2
	s_waitcnt lgkmcnt(0)
	s_barrier
	buffer_gl0_inv
	v_cmpx_lt_u32_e32 15, v0
	s_cbranch_execz .LBB52_25
; %bb.22:
	v_subrev_nc_u32_e32 v5, 64, v1
	s_mov_b32 s3, exec_lo
	ds_load_b32 v5, v5
	s_waitcnt lgkmcnt(0)
	v_cmpx_eq_u32_e64 v3, v5
	s_cbranch_execz .LBB52_24
; %bb.23:
	v_subrev_nc_u32_e32 v5, 64, v4
	ds_load_b32 v5, v5
	s_waitcnt lgkmcnt(0)
	v_add_f32_e32 v2, v2, v5
.LBB52_24:
	s_or_b32 exec_lo, exec_lo, s3
.LBB52_25:
	s_delay_alu instid0(SALU_CYCLE_1) | instskip(NEXT) | instid1(SALU_CYCLE_1)
	s_or_b32 exec_lo, exec_lo, s2
	s_mov_b32 s2, exec_lo
	s_barrier
	buffer_gl0_inv
	ds_store_b32 v4, v2
	s_waitcnt lgkmcnt(0)
	s_barrier
	buffer_gl0_inv
	v_cmpx_lt_u32_e32 31, v0
	s_cbranch_execz .LBB52_29
; %bb.26:
	v_add_nc_u32_e32 v5, 0xffffff80, v1
	s_mov_b32 s3, exec_lo
	ds_load_b32 v5, v5
	s_waitcnt lgkmcnt(0)
	v_cmpx_eq_u32_e64 v3, v5
	s_cbranch_execz .LBB52_28
; %bb.27:
	v_add_nc_u32_e32 v5, 0xffffff80, v4
	ds_load_b32 v5, v5
	s_waitcnt lgkmcnt(0)
	v_add_f32_e32 v2, v2, v5
.LBB52_28:
	s_or_b32 exec_lo, exec_lo, s3
.LBB52_29:
	s_delay_alu instid0(SALU_CYCLE_1) | instskip(NEXT) | instid1(SALU_CYCLE_1)
	s_or_b32 exec_lo, exec_lo, s2
	s_mov_b32 s2, exec_lo
	s_barrier
	buffer_gl0_inv
	ds_store_b32 v4, v2
	s_waitcnt lgkmcnt(0)
	s_barrier
	buffer_gl0_inv
	v_cmpx_lt_u32_e32 63, v0
	s_cbranch_execz .LBB52_33
; %bb.30:
	v_add_nc_u32_e32 v5, 0xffffff00, v1
	s_mov_b32 s3, exec_lo
	ds_load_b32 v5, v5
	s_waitcnt lgkmcnt(0)
	v_cmpx_eq_u32_e64 v3, v5
	s_cbranch_execz .LBB52_32
; %bb.31:
	v_add_nc_u32_e32 v5, 0xffffff00, v4
	ds_load_b32 v5, v5
	s_waitcnt lgkmcnt(0)
	v_add_f32_e32 v2, v2, v5
.LBB52_32:
	s_or_b32 exec_lo, exec_lo, s3
.LBB52_33:
	s_delay_alu instid0(SALU_CYCLE_1)
	s_or_b32 exec_lo, exec_lo, s2
	s_load_b64 s[2:3], s[0:1], 0x28
	s_mov_b32 s0, exec_lo
	s_waitcnt lgkmcnt(0)
	s_barrier
	buffer_gl0_inv
	ds_store_b32 v4, v2
	s_waitcnt lgkmcnt(0)
	s_barrier
	buffer_gl0_inv
	v_cmpx_lt_u32_e32 0x7f, v0
	s_cbranch_execz .LBB52_37
; %bb.34:
	v_add_nc_u32_e32 v5, 0xfffffe00, v1
	s_mov_b32 s1, exec_lo
	ds_load_b32 v5, v5
	s_waitcnt lgkmcnt(0)
	v_cmpx_eq_u32_e64 v3, v5
	s_cbranch_execz .LBB52_36
; %bb.35:
	v_add_nc_u32_e32 v5, 0xfffffe00, v4
	ds_load_b32 v5, v5
	s_waitcnt lgkmcnt(0)
	v_add_f32_e32 v2, v2, v5
.LBB52_36:
	s_or_b32 exec_lo, exec_lo, s1
.LBB52_37:
	s_delay_alu instid0(SALU_CYCLE_1) | instskip(NEXT) | instid1(SALU_CYCLE_1)
	s_or_b32 exec_lo, exec_lo, s0
	s_mov_b32 s1, exec_lo
	s_barrier
	buffer_gl0_inv
	ds_store_b32 v4, v2
	s_waitcnt lgkmcnt(0)
	s_barrier
	buffer_gl0_inv
	v_cmpx_gt_u32_e32 0xff, v0
	s_cbranch_execz .LBB52_41
; %bb.38:
	ds_load_b32 v1, v1 offset:4
	v_cmp_lt_i32_e64 s0, -1, v3
	s_waitcnt lgkmcnt(0)
	v_cmp_ne_u32_e32 vcc_lo, v3, v1
	s_delay_alu instid0(VALU_DEP_2) | instskip(NEXT) | instid1(SALU_CYCLE_1)
	s_and_b32 s0, s0, vcc_lo
	s_and_b32 exec_lo, exec_lo, s0
	s_cbranch_execz .LBB52_41
; %bb.39:
	v_dual_mov_b32 v4, 0 :: v_dual_mul_f32 v1, s6, v2
	s_mov_b32 s0, 0
	s_delay_alu instid0(VALU_DEP_1) | instskip(NEXT) | instid1(VALU_DEP_1)
	v_lshlrev_b64 v[4:5], 2, v[3:4]
	v_add_co_u32 v4, vcc_lo, s2, v4
	s_delay_alu instid0(VALU_DEP_2)
	v_add_co_ci_u32_e32 v5, vcc_lo, s3, v5, vcc_lo
	global_load_b32 v7, v[4:5], off
.LBB52_40:                              ; =>This Inner Loop Header: Depth=1
	s_waitcnt vmcnt(0)
	v_add_f32_e32 v6, v7, v1
	global_atomic_cmpswap_b32 v6, v[4:5], v[6:7], off glc
	s_waitcnt vmcnt(0)
	v_cmp_eq_u32_e32 vcc_lo, v6, v7
	v_mov_b32_e32 v7, v6
	s_or_b32 s0, vcc_lo, s0
	s_delay_alu instid0(SALU_CYCLE_1)
	s_and_not1_b32 exec_lo, exec_lo, s0
	s_cbranch_execnz .LBB52_40
.LBB52_41:
	s_or_b32 exec_lo, exec_lo, s1
	v_cmp_eq_u32_e32 vcc_lo, 0xff, v0
	v_cmp_lt_i32_e64 s0, -1, v3
	s_delay_alu instid0(VALU_DEP_1) | instskip(NEXT) | instid1(SALU_CYCLE_1)
	s_and_b32 s0, vcc_lo, s0
	s_and_saveexec_b32 s1, s0
	s_cbranch_execz .LBB52_44
; %bb.42:
	v_mov_b32_e32 v4, 0
	s_mov_b32 s0, 0
	s_delay_alu instid0(VALU_DEP_1) | instskip(SKIP_1) | instid1(VALU_DEP_2)
	v_lshlrev_b64 v[0:1], 2, v[3:4]
	v_mul_f32_e32 v4, s6, v2
	v_add_co_u32 v0, vcc_lo, s2, v0
	s_delay_alu instid0(VALU_DEP_3)
	v_add_co_ci_u32_e32 v1, vcc_lo, s3, v1, vcc_lo
	global_load_b32 v3, v[0:1], off
.LBB52_43:                              ; =>This Inner Loop Header: Depth=1
	s_waitcnt vmcnt(0)
	v_add_f32_e32 v2, v3, v4
	global_atomic_cmpswap_b32 v2, v[0:1], v[2:3], off glc
	s_waitcnt vmcnt(0)
	v_cmp_eq_u32_e32 vcc_lo, v2, v3
	v_mov_b32_e32 v3, v2
	s_or_b32 s0, vcc_lo, s0
	s_delay_alu instid0(SALU_CYCLE_1)
	s_and_not1_b32 exec_lo, exec_lo, s0
	s_cbranch_execnz .LBB52_43
.LBB52_44:
	s_endpgm
	.section	.rodata,"a",@progbits
	.p2align	6, 0x0
	.amdhsa_kernel _ZN9rocsparseL23coomvn_aos_atomic_loopsILj256ELj1Ei18rocsparse_bfloat16S1_ffEEvlNS_24const_host_device_scalarIT5_EEPKT1_PKT2_PKT3_PT4_21rocsparse_index_base_b
		.amdhsa_group_segment_fixed_size 2048
		.amdhsa_private_segment_fixed_size 0
		.amdhsa_kernarg_size 56
		.amdhsa_user_sgpr_count 15
		.amdhsa_user_sgpr_dispatch_ptr 0
		.amdhsa_user_sgpr_queue_ptr 0
		.amdhsa_user_sgpr_kernarg_segment_ptr 1
		.amdhsa_user_sgpr_dispatch_id 0
		.amdhsa_user_sgpr_private_segment_size 0
		.amdhsa_wavefront_size32 1
		.amdhsa_uses_dynamic_stack 0
		.amdhsa_enable_private_segment 0
		.amdhsa_system_sgpr_workgroup_id_x 1
		.amdhsa_system_sgpr_workgroup_id_y 0
		.amdhsa_system_sgpr_workgroup_id_z 0
		.amdhsa_system_sgpr_workgroup_info 0
		.amdhsa_system_vgpr_workitem_id 0
		.amdhsa_next_free_vgpr 8
		.amdhsa_next_free_sgpr 16
		.amdhsa_reserve_vcc 1
		.amdhsa_float_round_mode_32 0
		.amdhsa_float_round_mode_16_64 0
		.amdhsa_float_denorm_mode_32 3
		.amdhsa_float_denorm_mode_16_64 3
		.amdhsa_dx10_clamp 1
		.amdhsa_ieee_mode 1
		.amdhsa_fp16_overflow 0
		.amdhsa_workgroup_processor_mode 1
		.amdhsa_memory_ordered 1
		.amdhsa_forward_progress 0
		.amdhsa_shared_vgpr_count 0
		.amdhsa_exception_fp_ieee_invalid_op 0
		.amdhsa_exception_fp_denorm_src 0
		.amdhsa_exception_fp_ieee_div_zero 0
		.amdhsa_exception_fp_ieee_overflow 0
		.amdhsa_exception_fp_ieee_underflow 0
		.amdhsa_exception_fp_ieee_inexact 0
		.amdhsa_exception_int_div_zero 0
	.end_amdhsa_kernel
	.section	.text._ZN9rocsparseL23coomvn_aos_atomic_loopsILj256ELj1Ei18rocsparse_bfloat16S1_ffEEvlNS_24const_host_device_scalarIT5_EEPKT1_PKT2_PKT3_PT4_21rocsparse_index_base_b,"axG",@progbits,_ZN9rocsparseL23coomvn_aos_atomic_loopsILj256ELj1Ei18rocsparse_bfloat16S1_ffEEvlNS_24const_host_device_scalarIT5_EEPKT1_PKT2_PKT3_PT4_21rocsparse_index_base_b,comdat
.Lfunc_end52:
	.size	_ZN9rocsparseL23coomvn_aos_atomic_loopsILj256ELj1Ei18rocsparse_bfloat16S1_ffEEvlNS_24const_host_device_scalarIT5_EEPKT1_PKT2_PKT3_PT4_21rocsparse_index_base_b, .Lfunc_end52-_ZN9rocsparseL23coomvn_aos_atomic_loopsILj256ELj1Ei18rocsparse_bfloat16S1_ffEEvlNS_24const_host_device_scalarIT5_EEPKT1_PKT2_PKT3_PT4_21rocsparse_index_base_b
                                        ; -- End function
	.section	.AMDGPU.csdata,"",@progbits
; Kernel info:
; codeLenInByte = 1532
; NumSgprs: 18
; NumVgprs: 8
; ScratchSize: 0
; MemoryBound: 0
; FloatMode: 240
; IeeeMode: 1
; LDSByteSize: 2048 bytes/workgroup (compile time only)
; SGPRBlocks: 2
; VGPRBlocks: 0
; NumSGPRsForWavesPerEU: 18
; NumVGPRsForWavesPerEU: 8
; Occupancy: 16
; WaveLimiterHint : 1
; COMPUTE_PGM_RSRC2:SCRATCH_EN: 0
; COMPUTE_PGM_RSRC2:USER_SGPR: 15
; COMPUTE_PGM_RSRC2:TRAP_HANDLER: 0
; COMPUTE_PGM_RSRC2:TGID_X_EN: 1
; COMPUTE_PGM_RSRC2:TGID_Y_EN: 0
; COMPUTE_PGM_RSRC2:TGID_Z_EN: 0
; COMPUTE_PGM_RSRC2:TIDIG_COMP_CNT: 0
	.section	.text._ZN9rocsparseL17coomvt_aos_kernelILj1024Ei18rocsparse_bfloat16S1_ffEEv20rocsparse_operation_lNS_24const_host_device_scalarIT4_EEPKT0_PKT1_PKT2_PT3_21rocsparse_index_base_b,"axG",@progbits,_ZN9rocsparseL17coomvt_aos_kernelILj1024Ei18rocsparse_bfloat16S1_ffEEv20rocsparse_operation_lNS_24const_host_device_scalarIT4_EEPKT0_PKT1_PKT2_PT3_21rocsparse_index_base_b,comdat
	.globl	_ZN9rocsparseL17coomvt_aos_kernelILj1024Ei18rocsparse_bfloat16S1_ffEEv20rocsparse_operation_lNS_24const_host_device_scalarIT4_EEPKT0_PKT1_PKT2_PT3_21rocsparse_index_base_b ; -- Begin function _ZN9rocsparseL17coomvt_aos_kernelILj1024Ei18rocsparse_bfloat16S1_ffEEv20rocsparse_operation_lNS_24const_host_device_scalarIT4_EEPKT0_PKT1_PKT2_PT3_21rocsparse_index_base_b
	.p2align	8
	.type	_ZN9rocsparseL17coomvt_aos_kernelILj1024Ei18rocsparse_bfloat16S1_ffEEv20rocsparse_operation_lNS_24const_host_device_scalarIT4_EEPKT0_PKT1_PKT2_PT3_21rocsparse_index_base_b,@function
_ZN9rocsparseL17coomvt_aos_kernelILj1024Ei18rocsparse_bfloat16S1_ffEEv20rocsparse_operation_lNS_24const_host_device_scalarIT4_EEPKT0_PKT1_PKT2_PT3_21rocsparse_index_base_b: ; @_ZN9rocsparseL17coomvt_aos_kernelILj1024Ei18rocsparse_bfloat16S1_ffEEv20rocsparse_operation_lNS_24const_host_device_scalarIT4_EEPKT0_PKT1_PKT2_PT3_21rocsparse_index_base_b
; %bb.0:
	s_clause 0x1
	s_load_b64 s[12:13], s[0:1], 0x38
	s_load_b128 s[8:11], s[0:1], 0x8
	s_waitcnt lgkmcnt(0)
	s_bitcmp1_b32 s13, 0
	s_cselect_b32 s2, -1, 0
	s_delay_alu instid0(SALU_CYCLE_1)
	s_and_b32 vcc_lo, exec_lo, s2
	s_cbranch_vccnz .LBB53_2
; %bb.1:
	s_load_b32 s10, s[10:11], 0x0
.LBB53_2:
	s_waitcnt lgkmcnt(0)
	v_cmp_eq_f32_e64 s2, s10, 0
	s_delay_alu instid0(VALU_DEP_1)
	s_and_b32 vcc_lo, exec_lo, s2
	s_cbranch_vccnz .LBB53_6
; %bb.3:
	s_load_b32 s2, s[0:1], 0x4c
	s_waitcnt lgkmcnt(0)
	s_and_b32 s2, s2, 0xffff
	s_delay_alu instid0(SALU_CYCLE_1) | instskip(SKIP_2) | instid1(VALU_DEP_1)
	v_mad_u64_u32 v[1:2], null, s15, s2, v[0:1]
	v_mov_b32_e32 v2, 0
	s_mov_b32 s2, exec_lo
	v_cmpx_gt_i64_e64 s[8:9], v[1:2]
	s_cbranch_execz .LBB53_6
; %bb.4:
	s_load_b256 s[0:7], s[0:1], 0x18
	v_lshlrev_b64 v[3:4], 3, v[1:2]
	s_waitcnt lgkmcnt(0)
	s_delay_alu instid0(VALU_DEP_1) | instskip(NEXT) | instid1(VALU_DEP_2)
	v_add_co_u32 v3, vcc_lo, s0, v3
	v_add_co_ci_u32_e32 v4, vcc_lo, s1, v4, vcc_lo
	s_mov_b32 s0, 0
	global_load_b64 v[3:4], v[3:4], off
	s_waitcnt vmcnt(0)
	v_subrev_nc_u32_e32 v0, s12, v3
	v_lshlrev_b64 v[2:3], 1, v[1:2]
	v_subrev_nc_u32_e32 v4, s12, v4
	s_delay_alu instid0(VALU_DEP_3) | instskip(NEXT) | instid1(VALU_DEP_3)
	v_ashrrev_i32_e32 v1, 31, v0
	v_add_co_u32 v2, vcc_lo, s2, v2
	s_delay_alu instid0(VALU_DEP_4) | instskip(NEXT) | instid1(VALU_DEP_3)
	v_add_co_ci_u32_e32 v3, vcc_lo, s3, v3, vcc_lo
	v_lshlrev_b64 v[0:1], 1, v[0:1]
	v_ashrrev_i32_e32 v5, 31, v4
	global_load_u16 v6, v[2:3], off
	v_lshlrev_b64 v[2:3], 2, v[4:5]
	v_add_co_u32 v0, vcc_lo, s4, v0
	v_add_co_ci_u32_e32 v1, vcc_lo, s5, v1, vcc_lo
	global_load_u16 v4, v[0:1], off
	v_add_co_u32 v0, vcc_lo, s6, v2
	v_add_co_ci_u32_e32 v1, vcc_lo, s7, v3, vcc_lo
	global_load_b32 v3, v[0:1], off
	s_waitcnt vmcnt(2)
	v_lshlrev_b32_e32 v2, 16, v6
	s_delay_alu instid0(VALU_DEP_1) | instskip(SKIP_2) | instid1(VALU_DEP_1)
	v_mul_f32_e32 v2, s10, v2
	s_waitcnt vmcnt(1)
	v_lshlrev_b32_e32 v4, 16, v4
	v_mul_f32_e32 v4, v2, v4
.LBB53_5:                               ; =>This Inner Loop Header: Depth=1
	s_waitcnt vmcnt(0)
	s_delay_alu instid0(VALU_DEP_1)
	v_add_f32_e32 v2, v3, v4
	global_atomic_cmpswap_b32 v2, v[0:1], v[2:3], off glc
	s_waitcnt vmcnt(0)
	v_cmp_eq_u32_e32 vcc_lo, v2, v3
	v_mov_b32_e32 v3, v2
	s_or_b32 s0, vcc_lo, s0
	s_delay_alu instid0(SALU_CYCLE_1)
	s_and_not1_b32 exec_lo, exec_lo, s0
	s_cbranch_execnz .LBB53_5
.LBB53_6:
	s_endpgm
	.section	.rodata,"a",@progbits
	.p2align	6, 0x0
	.amdhsa_kernel _ZN9rocsparseL17coomvt_aos_kernelILj1024Ei18rocsparse_bfloat16S1_ffEEv20rocsparse_operation_lNS_24const_host_device_scalarIT4_EEPKT0_PKT1_PKT2_PT3_21rocsparse_index_base_b
		.amdhsa_group_segment_fixed_size 0
		.amdhsa_private_segment_fixed_size 0
		.amdhsa_kernarg_size 320
		.amdhsa_user_sgpr_count 15
		.amdhsa_user_sgpr_dispatch_ptr 0
		.amdhsa_user_sgpr_queue_ptr 0
		.amdhsa_user_sgpr_kernarg_segment_ptr 1
		.amdhsa_user_sgpr_dispatch_id 0
		.amdhsa_user_sgpr_private_segment_size 0
		.amdhsa_wavefront_size32 1
		.amdhsa_uses_dynamic_stack 0
		.amdhsa_enable_private_segment 0
		.amdhsa_system_sgpr_workgroup_id_x 1
		.amdhsa_system_sgpr_workgroup_id_y 0
		.amdhsa_system_sgpr_workgroup_id_z 0
		.amdhsa_system_sgpr_workgroup_info 0
		.amdhsa_system_vgpr_workitem_id 0
		.amdhsa_next_free_vgpr 7
		.amdhsa_next_free_sgpr 16
		.amdhsa_reserve_vcc 1
		.amdhsa_float_round_mode_32 0
		.amdhsa_float_round_mode_16_64 0
		.amdhsa_float_denorm_mode_32 3
		.amdhsa_float_denorm_mode_16_64 3
		.amdhsa_dx10_clamp 1
		.amdhsa_ieee_mode 1
		.amdhsa_fp16_overflow 0
		.amdhsa_workgroup_processor_mode 1
		.amdhsa_memory_ordered 1
		.amdhsa_forward_progress 0
		.amdhsa_shared_vgpr_count 0
		.amdhsa_exception_fp_ieee_invalid_op 0
		.amdhsa_exception_fp_denorm_src 0
		.amdhsa_exception_fp_ieee_div_zero 0
		.amdhsa_exception_fp_ieee_overflow 0
		.amdhsa_exception_fp_ieee_underflow 0
		.amdhsa_exception_fp_ieee_inexact 0
		.amdhsa_exception_int_div_zero 0
	.end_amdhsa_kernel
	.section	.text._ZN9rocsparseL17coomvt_aos_kernelILj1024Ei18rocsparse_bfloat16S1_ffEEv20rocsparse_operation_lNS_24const_host_device_scalarIT4_EEPKT0_PKT1_PKT2_PT3_21rocsparse_index_base_b,"axG",@progbits,_ZN9rocsparseL17coomvt_aos_kernelILj1024Ei18rocsparse_bfloat16S1_ffEEv20rocsparse_operation_lNS_24const_host_device_scalarIT4_EEPKT0_PKT1_PKT2_PT3_21rocsparse_index_base_b,comdat
.Lfunc_end53:
	.size	_ZN9rocsparseL17coomvt_aos_kernelILj1024Ei18rocsparse_bfloat16S1_ffEEv20rocsparse_operation_lNS_24const_host_device_scalarIT4_EEPKT0_PKT1_PKT2_PT3_21rocsparse_index_base_b, .Lfunc_end53-_ZN9rocsparseL17coomvt_aos_kernelILj1024Ei18rocsparse_bfloat16S1_ffEEv20rocsparse_operation_lNS_24const_host_device_scalarIT4_EEPKT0_PKT1_PKT2_PT3_21rocsparse_index_base_b
                                        ; -- End function
	.section	.AMDGPU.csdata,"",@progbits
; Kernel info:
; codeLenInByte = 368
; NumSgprs: 18
; NumVgprs: 7
; ScratchSize: 0
; MemoryBound: 0
; FloatMode: 240
; IeeeMode: 1
; LDSByteSize: 0 bytes/workgroup (compile time only)
; SGPRBlocks: 2
; VGPRBlocks: 0
; NumSGPRsForWavesPerEU: 18
; NumVGPRsForWavesPerEU: 7
; Occupancy: 16
; WaveLimiterHint : 1
; COMPUTE_PGM_RSRC2:SCRATCH_EN: 0
; COMPUTE_PGM_RSRC2:USER_SGPR: 15
; COMPUTE_PGM_RSRC2:TRAP_HANDLER: 0
; COMPUTE_PGM_RSRC2:TGID_X_EN: 1
; COMPUTE_PGM_RSRC2:TGID_Y_EN: 0
; COMPUTE_PGM_RSRC2:TGID_Z_EN: 0
; COMPUTE_PGM_RSRC2:TIDIG_COMP_CNT: 0
	.section	.text._ZN9rocsparseL26coomvn_aos_segmented_loopsILj256Ei18rocsparse_bfloat16S1_ffEEvlT0_NS_24const_host_device_scalarIT4_EEPKS2_PKT1_PKT2_PT3_PS2_PS4_21rocsparse_index_base_b,"axG",@progbits,_ZN9rocsparseL26coomvn_aos_segmented_loopsILj256Ei18rocsparse_bfloat16S1_ffEEvlT0_NS_24const_host_device_scalarIT4_EEPKS2_PKT1_PKT2_PT3_PS2_PS4_21rocsparse_index_base_b,comdat
	.globl	_ZN9rocsparseL26coomvn_aos_segmented_loopsILj256Ei18rocsparse_bfloat16S1_ffEEvlT0_NS_24const_host_device_scalarIT4_EEPKS2_PKT1_PKT2_PT3_PS2_PS4_21rocsparse_index_base_b ; -- Begin function _ZN9rocsparseL26coomvn_aos_segmented_loopsILj256Ei18rocsparse_bfloat16S1_ffEEvlT0_NS_24const_host_device_scalarIT4_EEPKS2_PKT1_PKT2_PT3_PS2_PS4_21rocsparse_index_base_b
	.p2align	8
	.type	_ZN9rocsparseL26coomvn_aos_segmented_loopsILj256Ei18rocsparse_bfloat16S1_ffEEvlT0_NS_24const_host_device_scalarIT4_EEPKS2_PKT1_PKT2_PT3_PS2_PS4_21rocsparse_index_base_b,@function
_ZN9rocsparseL26coomvn_aos_segmented_loopsILj256Ei18rocsparse_bfloat16S1_ffEEvlT0_NS_24const_host_device_scalarIT4_EEPKS2_PKT1_PKT2_PT3_PS2_PS4_21rocsparse_index_base_b: ; @_ZN9rocsparseL26coomvn_aos_segmented_loopsILj256Ei18rocsparse_bfloat16S1_ffEEvlT0_NS_24const_host_device_scalarIT4_EEPKS2_PKT1_PKT2_PT3_PS2_PS4_21rocsparse_index_base_b
; %bb.0:
	s_clause 0x1
	s_load_b64 s[24:25], s[0:1], 0x48
	s_load_b64 s[20:21], s[0:1], 0x10
	s_mov_b32 s22, s15
	s_waitcnt lgkmcnt(0)
	s_bitcmp1_b32 s25, 0
	s_cselect_b32 s2, -1, 0
	s_delay_alu instid0(SALU_CYCLE_1)
	s_and_b32 vcc_lo, exec_lo, s2
	s_cbranch_vccnz .LBB54_2
; %bb.1:
	s_load_b32 s20, s[20:21], 0x0
.LBB54_2:
	s_waitcnt lgkmcnt(0)
	v_cmp_eq_f32_e64 s2, s20, 0
	s_delay_alu instid0(VALU_DEP_1)
	s_and_b32 vcc_lo, exec_lo, s2
	s_cbranch_vccnz .LBB54_89
; %bb.3:
	s_clause 0x3
	s_load_b32 s21, s[0:1], 0x8
	s_load_b64 s[26:27], s[0:1], 0x0
	s_load_b128 s[16:19], s[0:1], 0x18
	s_load_b64 s[30:31], s[0:1], 0x28
	v_dual_mov_b32 v2, 0 :: v_dual_mov_b32 v3, -1
	s_waitcnt lgkmcnt(0)
	s_mul_i32 s2, s22, s21
	s_delay_alu instid0(SALU_CYCLE_1) | instskip(SKIP_1) | instid1(VALU_DEP_1)
	v_lshl_or_b32 v1, s2, 8, v0
	s_mov_b32 s2, exec_lo
	v_lshlrev_b64 v[5:6], 3, v[1:2]
	v_lshlrev_b64 v[7:8], 1, v[1:2]
	v_cmpx_gt_i64_e64 s[26:27], v[1:2]
	s_cbranch_execz .LBB54_5
; %bb.4:
	s_delay_alu instid0(VALU_DEP_3) | instskip(NEXT) | instid1(VALU_DEP_4)
	v_add_co_u32 v2, vcc_lo, s16, v5
	v_add_co_ci_u32_e32 v3, vcc_lo, s17, v6, vcc_lo
	s_delay_alu instid0(VALU_DEP_4) | instskip(SKIP_3) | instid1(SALU_CYCLE_1)
	v_add_co_u32 v9, vcc_lo, s18, v7
	v_add_co_ci_u32_e32 v10, vcc_lo, s19, v8, vcc_lo
	global_load_b64 v[2:3], v[2:3], off slc dlc
	s_ashr_i32 s25, s24, 31
	s_lshl_b64 s[4:5], s[24:25], 1
	s_waitcnt vmcnt(0)
	v_ashrrev_i32_e32 v4, 31, v3
	s_delay_alu instid0(VALU_DEP_1) | instskip(NEXT) | instid1(VALU_DEP_1)
	v_lshlrev_b64 v[3:4], 1, v[3:4]
	v_add_co_u32 v3, vcc_lo, s30, v3
	s_delay_alu instid0(VALU_DEP_2) | instskip(NEXT) | instid1(VALU_DEP_2)
	v_add_co_ci_u32_e32 v4, vcc_lo, s31, v4, vcc_lo
	v_sub_co_u32 v3, vcc_lo, v3, s4
	s_delay_alu instid0(VALU_DEP_2)
	v_subrev_co_ci_u32_e32 v4, vcc_lo, s5, v4, vcc_lo
	global_load_u16 v9, v[9:10], off
	global_load_u16 v3, v[3:4], off
	s_waitcnt vmcnt(1)
	v_lshlrev_b32_e32 v4, 16, v9
	s_waitcnt vmcnt(0)
	v_lshlrev_b32_e32 v9, 16, v3
	v_subrev_nc_u32_e32 v3, s24, v2
	s_delay_alu instid0(VALU_DEP_2)
	v_mul_f32_e32 v2, v4, v9
.LBB54_5:
	s_or_b32 exec_lo, exec_lo, s2
	v_lshlrev_b32_e32 v11, 2, v0
	v_cmp_eq_u32_e32 vcc_lo, 0, v0
	v_cmp_ne_u32_e64 s2, 0, v0
	s_delay_alu instid0(VALU_DEP_3)
	v_or_b32_e32 v12, 0x400, v11
	v_add_nc_u32_e32 v13, -4, v11
	ds_store_2addr_stride64_b32 v11, v3, v2 offset1:4
	s_waitcnt lgkmcnt(0)
	s_barrier
	buffer_gl0_inv
	s_and_saveexec_b32 s4, s2
	s_cbranch_execz .LBB54_9
; %bb.6:
	ds_load_b32 v4, v13
	s_mov_b32 s5, exec_lo
	s_waitcnt lgkmcnt(0)
	v_cmpx_eq_u32_e64 v3, v4
	s_cbranch_execz .LBB54_8
; %bb.7:
	v_add_nc_u32_e32 v4, -4, v12
	ds_load_b32 v4, v4
	s_waitcnt lgkmcnt(0)
	v_add_f32_e32 v2, v2, v4
.LBB54_8:
	s_or_b32 exec_lo, exec_lo, s5
.LBB54_9:
	s_delay_alu instid0(SALU_CYCLE_1)
	s_or_b32 exec_lo, exec_lo, s4
	v_cmp_lt_u32_e64 s3, 1, v0
	v_add_nc_u32_e32 v14, -8, v11
	s_barrier
	buffer_gl0_inv
	ds_store_b32 v12, v2
	s_waitcnt lgkmcnt(0)
	s_barrier
	buffer_gl0_inv
	s_and_saveexec_b32 s5, s3
	s_cbranch_execz .LBB54_13
; %bb.10:
	ds_load_b32 v4, v14
	s_mov_b32 s6, exec_lo
	s_waitcnt lgkmcnt(0)
	v_cmpx_eq_u32_e64 v3, v4
	s_cbranch_execz .LBB54_12
; %bb.11:
	v_add_nc_u32_e32 v4, -8, v12
	ds_load_b32 v4, v4
	s_waitcnt lgkmcnt(0)
	v_add_f32_e32 v2, v2, v4
.LBB54_12:
	s_or_b32 exec_lo, exec_lo, s6
.LBB54_13:
	s_delay_alu instid0(SALU_CYCLE_1)
	s_or_b32 exec_lo, exec_lo, s5
	v_cmp_lt_u32_e64 s4, 3, v0
	v_add_nc_u32_e32 v15, -16, v11
	s_barrier
	buffer_gl0_inv
	ds_store_b32 v12, v2
	s_waitcnt lgkmcnt(0)
	s_barrier
	buffer_gl0_inv
	s_and_saveexec_b32 s6, s4
	s_cbranch_execz .LBB54_17
; %bb.14:
	ds_load_b32 v4, v15
	s_mov_b32 s7, exec_lo
	s_waitcnt lgkmcnt(0)
	v_cmpx_eq_u32_e64 v3, v4
	s_cbranch_execz .LBB54_16
; %bb.15:
	v_add_nc_u32_e32 v4, -16, v12
	ds_load_b32 v4, v4
	s_waitcnt lgkmcnt(0)
	v_add_f32_e32 v2, v2, v4
.LBB54_16:
	s_or_b32 exec_lo, exec_lo, s7
.LBB54_17:
	s_delay_alu instid0(SALU_CYCLE_1)
	s_or_b32 exec_lo, exec_lo, s6
	v_cmp_lt_u32_e64 s5, 7, v0
	v_subrev_nc_u32_e32 v16, 32, v11
	s_barrier
	buffer_gl0_inv
	ds_store_b32 v12, v2
	s_waitcnt lgkmcnt(0)
	s_barrier
	buffer_gl0_inv
	s_and_saveexec_b32 s7, s5
	s_cbranch_execz .LBB54_21
; %bb.18:
	ds_load_b32 v4, v16
	s_mov_b32 s8, exec_lo
	s_waitcnt lgkmcnt(0)
	v_cmpx_eq_u32_e64 v3, v4
	s_cbranch_execz .LBB54_20
; %bb.19:
	v_subrev_nc_u32_e32 v4, 32, v12
	ds_load_b32 v4, v4
	s_waitcnt lgkmcnt(0)
	v_add_f32_e32 v2, v2, v4
.LBB54_20:
	s_or_b32 exec_lo, exec_lo, s8
.LBB54_21:
	s_delay_alu instid0(SALU_CYCLE_1)
	s_or_b32 exec_lo, exec_lo, s7
	v_cmp_lt_u32_e64 s6, 15, v0
	v_subrev_nc_u32_e32 v17, 64, v11
	s_barrier
	buffer_gl0_inv
	ds_store_b32 v12, v2
	s_waitcnt lgkmcnt(0)
	s_barrier
	buffer_gl0_inv
	s_and_saveexec_b32 s8, s6
	s_cbranch_execz .LBB54_25
; %bb.22:
	ds_load_b32 v4, v17
	s_mov_b32 s9, exec_lo
	s_waitcnt lgkmcnt(0)
	v_cmpx_eq_u32_e64 v3, v4
	s_cbranch_execz .LBB54_24
; %bb.23:
	v_subrev_nc_u32_e32 v4, 64, v12
	ds_load_b32 v4, v4
	s_waitcnt lgkmcnt(0)
	v_add_f32_e32 v2, v2, v4
.LBB54_24:
	s_or_b32 exec_lo, exec_lo, s9
.LBB54_25:
	s_delay_alu instid0(SALU_CYCLE_1)
	s_or_b32 exec_lo, exec_lo, s8
	v_cmp_lt_u32_e64 s7, 31, v0
	v_add_nc_u32_e32 v18, 0xffffff80, v11
	s_barrier
	buffer_gl0_inv
	ds_store_b32 v12, v2
	s_waitcnt lgkmcnt(0)
	s_barrier
	buffer_gl0_inv
	s_and_saveexec_b32 s9, s7
	s_cbranch_execz .LBB54_29
; %bb.26:
	ds_load_b32 v4, v18
	s_mov_b32 s10, exec_lo
	s_waitcnt lgkmcnt(0)
	v_cmpx_eq_u32_e64 v3, v4
	s_cbranch_execz .LBB54_28
; %bb.27:
	v_add_nc_u32_e32 v4, 0xffffff80, v12
	ds_load_b32 v4, v4
	s_waitcnt lgkmcnt(0)
	v_add_f32_e32 v2, v2, v4
.LBB54_28:
	s_or_b32 exec_lo, exec_lo, s10
.LBB54_29:
	s_delay_alu instid0(SALU_CYCLE_1)
	s_or_b32 exec_lo, exec_lo, s9
	v_cmp_lt_u32_e64 s8, 63, v0
	v_add_nc_u32_e32 v19, 0xffffff00, v11
	s_barrier
	buffer_gl0_inv
	ds_store_b32 v12, v2
	s_waitcnt lgkmcnt(0)
	s_barrier
	buffer_gl0_inv
	s_and_saveexec_b32 s10, s8
	s_cbranch_execz .LBB54_33
; %bb.30:
	ds_load_b32 v4, v19
	s_mov_b32 s11, exec_lo
	s_waitcnt lgkmcnt(0)
	v_cmpx_eq_u32_e64 v3, v4
	s_cbranch_execz .LBB54_32
; %bb.31:
	v_add_nc_u32_e32 v4, 0xffffff00, v12
	ds_load_b32 v4, v4
	s_waitcnt lgkmcnt(0)
	v_add_f32_e32 v2, v2, v4
.LBB54_32:
	s_or_b32 exec_lo, exec_lo, s11
.LBB54_33:
	s_delay_alu instid0(SALU_CYCLE_1)
	s_or_b32 exec_lo, exec_lo, s10
	s_load_b64 s[28:29], s[0:1], 0x30
	v_cmp_lt_u32_e64 s9, 0x7f, v0
	v_add_nc_u32_e32 v20, 0xfffffe00, v11
	s_waitcnt lgkmcnt(0)
	s_barrier
	buffer_gl0_inv
	ds_store_b32 v12, v2
	s_waitcnt lgkmcnt(0)
	s_barrier
	buffer_gl0_inv
	s_and_saveexec_b32 s11, s9
	s_cbranch_execz .LBB54_37
; %bb.34:
	ds_load_b32 v4, v20
	s_mov_b32 s12, exec_lo
	s_waitcnt lgkmcnt(0)
	v_cmpx_eq_u32_e64 v3, v4
	s_cbranch_execz .LBB54_36
; %bb.35:
	v_add_nc_u32_e32 v4, 0xfffffe00, v12
	ds_load_b32 v4, v4
	s_waitcnt lgkmcnt(0)
	v_add_f32_e32 v2, v2, v4
.LBB54_36:
	s_or_b32 exec_lo, exec_lo, s12
.LBB54_37:
	s_delay_alu instid0(SALU_CYCLE_1)
	s_or_b32 exec_lo, exec_lo, s11
	v_cmp_gt_u32_e64 s10, 0xff, v0
	s_barrier
	buffer_gl0_inv
	ds_store_b32 v12, v2
	s_waitcnt lgkmcnt(0)
	s_barrier
	buffer_gl0_inv
	s_and_saveexec_b32 s13, s10
	s_cbranch_execz .LBB54_40
; %bb.38:
	ds_load_b32 v4, v11 offset:4
	v_cmp_lt_i32_e64 s12, -1, v3
	s_waitcnt lgkmcnt(0)
	v_cmp_ne_u32_e64 s11, v3, v4
	s_delay_alu instid0(VALU_DEP_1) | instskip(NEXT) | instid1(SALU_CYCLE_1)
	s_and_b32 s11, s12, s11
	s_and_b32 exec_lo, exec_lo, s11
	s_cbranch_execz .LBB54_40
; %bb.39:
	v_mov_b32_e32 v4, 0
	s_delay_alu instid0(VALU_DEP_1) | instskip(NEXT) | instid1(VALU_DEP_1)
	v_lshlrev_b64 v[9:10], 2, v[3:4]
	v_add_co_u32 v9, s11, s28, v9
	s_delay_alu instid0(VALU_DEP_1)
	v_add_co_ci_u32_e64 v10, s11, s29, v10, s11
	global_load_b32 v4, v[9:10], off
	s_waitcnt vmcnt(0)
	v_fmac_f32_e32 v4, s20, v2
	global_store_b32 v[9:10], v4, off
.LBB54_40:
	s_or_b32 exec_lo, exec_lo, s13
	s_load_b128 s[12:15], s[0:1], 0x38
	s_cmp_lt_i32 s21, 2
	s_cbranch_scc1 .LBB54_87
; %bb.41:
	s_ashr_i32 s25, s24, 31
	v_add_nc_u32_e32 v21, -4, v12
	s_lshl_b64 s[0:1], s[24:25], 1
	v_add_nc_u32_e32 v22, -8, v12
	s_sub_u32 s11, s30, s0
	v_add_co_u32 v2, s0, v7, s18
	s_delay_alu instid0(VALU_DEP_1) | instskip(SKIP_1) | instid1(VALU_DEP_1)
	v_add_co_ci_u32_e64 v3, s0, s19, v8, s0
	v_add_co_u32 v4, s0, v5, s16
	v_add_co_ci_u32_e64 v8, s0, s17, v6, s0
	s_delay_alu instid0(VALU_DEP_4) | instskip(NEXT) | instid1(VALU_DEP_1)
	v_add_co_u32 v5, s0, 0x200, v2
	v_add_co_ci_u32_e64 v6, s0, 0, v3, s0
	s_delay_alu instid0(VALU_DEP_4)
	v_add_co_u32 v7, s0, 0x800, v4
	v_mov_b32_e32 v4, 0
	v_add_co_ci_u32_e64 v8, s0, 0, v8, s0
	v_add_co_u32 v9, s0, 0x100, v1
	v_add_nc_u32_e32 v23, -16, v12
	v_subrev_nc_u32_e32 v24, 32, v12
	v_subrev_nc_u32_e32 v25, 64, v12
	v_add_nc_u32_e32 v26, 0xffffff80, v12
	v_add_nc_u32_e32 v27, 0xffffff00, v12
	;; [unrolled: 1-line block ×3, first 2 shown]
	v_add_co_ci_u32_e64 v10, null, 0, 0, s0
	s_subb_u32 s18, s31, s1
	s_add_i32 s19, s21, -1
	s_mov_b32 s17, 0
	s_branch .LBB54_43
.LBB54_42:                              ;   in Loop: Header=BB54_43 Depth=1
	s_or_b32 exec_lo, exec_lo, s16
	v_add_co_u32 v5, s0, 0x200, v5
	s_delay_alu instid0(VALU_DEP_1) | instskip(SKIP_1) | instid1(VALU_DEP_1)
	v_add_co_ci_u32_e64 v6, s0, 0, v6, s0
	v_add_co_u32 v7, s0, 0x800, v7
	v_add_co_ci_u32_e64 v8, s0, 0, v8, s0
	v_add_co_u32 v9, s0, 0x100, v9
	s_delay_alu instid0(VALU_DEP_1) | instskip(SKIP_1) | instid1(SALU_CYCLE_1)
	v_add_co_ci_u32_e64 v10, s0, 0, v10, s0
	s_add_i32 s19, s19, -1
	s_cmp_eq_u32 s19, 0
	s_cbranch_scc1 .LBB54_87
.LBB54_43:                              ; =>This Inner Loop Header: Depth=1
	v_dual_mov_b32 v3, -1 :: v_dual_mov_b32 v2, 0
	s_mov_b32 s1, exec_lo
	v_cmpx_gt_i64_e64 s[26:27], v[9:10]
	s_cbranch_execz .LBB54_45
; %bb.44:                               ;   in Loop: Header=BB54_43 Depth=1
	global_load_b64 v[1:2], v[7:8], off slc dlc
	s_waitcnt vmcnt(0)
	v_ashrrev_i32_e32 v3, 31, v2
	s_delay_alu instid0(VALU_DEP_1) | instskip(NEXT) | instid1(VALU_DEP_1)
	v_lshlrev_b64 v[2:3], 1, v[2:3]
	v_add_co_u32 v2, s0, s11, v2
	s_delay_alu instid0(VALU_DEP_1)
	v_add_co_ci_u32_e64 v3, s0, s18, v3, s0
	global_load_u16 v29, v[5:6], off
	global_load_u16 v2, v[2:3], off
	v_subrev_nc_u32_e32 v3, s24, v1
	s_waitcnt vmcnt(1)
	v_lshlrev_b32_e32 v29, 16, v29
	s_waitcnt vmcnt(0)
	v_lshlrev_b32_e32 v2, 16, v2
	s_delay_alu instid0(VALU_DEP_1)
	v_mul_f32_e32 v2, v29, v2
.LBB54_45:                              ;   in Loop: Header=BB54_43 Depth=1
	s_or_b32 exec_lo, exec_lo, s1
	s_and_saveexec_b32 s1, vcc_lo
	s_cbranch_execz .LBB54_52
; %bb.46:                               ;   in Loop: Header=BB54_43 Depth=1
	ds_load_b32 v1, v4 offset:1020
	s_waitcnt lgkmcnt(0)
	v_readfirstlane_b32 s16, v1
	v_cmp_ne_u32_e64 s0, v3, v1
	s_delay_alu instid0(VALU_DEP_1) | instskip(NEXT) | instid1(SALU_CYCLE_1)
	s_and_saveexec_b32 s21, s0
	s_xor_b32 s0, exec_lo, s21
	s_cbranch_execz .LBB54_49
; %bb.47:                               ;   in Loop: Header=BB54_43 Depth=1
	s_cmp_lt_i32 s16, 0
	s_cbranch_scc1 .LBB54_49
; %bb.48:                               ;   in Loop: Header=BB54_43 Depth=1
	s_lshl_b64 s[30:31], s[16:17], 2
	ds_load_b32 v29, v4 offset:2044
	s_add_u32 s30, s28, s30
	s_addc_u32 s31, s29, s31
	global_load_b32 v1, v4, s[30:31]
	s_waitcnt vmcnt(0) lgkmcnt(0)
	v_fmac_f32_e32 v1, s20, v29
	global_store_b32 v4, v1, s[30:31]
.LBB54_49:                              ;   in Loop: Header=BB54_43 Depth=1
	s_and_not1_saveexec_b32 s0, s0
	s_cbranch_execz .LBB54_51
; %bb.50:                               ;   in Loop: Header=BB54_43 Depth=1
	ds_load_b32 v1, v4 offset:2044
	s_waitcnt lgkmcnt(0)
	v_add_f32_e32 v2, v2, v1
.LBB54_51:                              ;   in Loop: Header=BB54_43 Depth=1
	s_or_b32 exec_lo, exec_lo, s0
.LBB54_52:                              ;   in Loop: Header=BB54_43 Depth=1
	s_delay_alu instid0(SALU_CYCLE_1)
	s_or_b32 exec_lo, exec_lo, s1
	s_waitcnt lgkmcnt(0)
	s_waitcnt_vscnt null, 0x0
	s_barrier
	buffer_gl0_inv
	ds_store_b32 v11, v3
	ds_store_b32 v12, v2
	s_waitcnt lgkmcnt(0)
	s_barrier
	buffer_gl0_inv
	s_and_saveexec_b32 s1, s2
	s_cbranch_execz .LBB54_56
; %bb.53:                               ;   in Loop: Header=BB54_43 Depth=1
	ds_load_b32 v1, v13
	s_mov_b32 s16, exec_lo
	s_waitcnt lgkmcnt(0)
	v_cmpx_eq_u32_e64 v3, v1
	s_cbranch_execz .LBB54_55
; %bb.54:                               ;   in Loop: Header=BB54_43 Depth=1
	ds_load_b32 v1, v21
	s_waitcnt lgkmcnt(0)
	v_add_f32_e32 v2, v2, v1
.LBB54_55:                              ;   in Loop: Header=BB54_43 Depth=1
	s_or_b32 exec_lo, exec_lo, s16
.LBB54_56:                              ;   in Loop: Header=BB54_43 Depth=1
	s_delay_alu instid0(SALU_CYCLE_1)
	s_or_b32 exec_lo, exec_lo, s1
	s_barrier
	buffer_gl0_inv
	ds_store_b32 v12, v2
	s_waitcnt lgkmcnt(0)
	s_barrier
	buffer_gl0_inv
	s_and_saveexec_b32 s1, s3
	s_cbranch_execz .LBB54_60
; %bb.57:                               ;   in Loop: Header=BB54_43 Depth=1
	ds_load_b32 v1, v14
	s_mov_b32 s16, exec_lo
	s_waitcnt lgkmcnt(0)
	v_cmpx_eq_u32_e64 v3, v1
	s_cbranch_execz .LBB54_59
; %bb.58:                               ;   in Loop: Header=BB54_43 Depth=1
	ds_load_b32 v1, v22
	s_waitcnt lgkmcnt(0)
	v_add_f32_e32 v2, v2, v1
.LBB54_59:                              ;   in Loop: Header=BB54_43 Depth=1
	s_or_b32 exec_lo, exec_lo, s16
.LBB54_60:                              ;   in Loop: Header=BB54_43 Depth=1
	s_delay_alu instid0(SALU_CYCLE_1)
	s_or_b32 exec_lo, exec_lo, s1
	s_barrier
	buffer_gl0_inv
	;; [unrolled: 23-line block ×8, first 2 shown]
	ds_store_b32 v12, v2
	s_waitcnt lgkmcnt(0)
	s_barrier
	buffer_gl0_inv
	s_and_saveexec_b32 s16, s10
	s_cbranch_execz .LBB54_42
; %bb.85:                               ;   in Loop: Header=BB54_43 Depth=1
	ds_load_b32 v1, v11 offset:4
	v_cmp_lt_i32_e64 s1, -1, v3
	s_waitcnt lgkmcnt(0)
	v_cmp_ne_u32_e64 s0, v3, v1
	s_delay_alu instid0(VALU_DEP_1) | instskip(NEXT) | instid1(SALU_CYCLE_1)
	s_and_b32 s0, s1, s0
	s_and_b32 exec_lo, exec_lo, s0
	s_cbranch_execz .LBB54_42
; %bb.86:                               ;   in Loop: Header=BB54_43 Depth=1
	v_lshlrev_b64 v[29:30], 2, v[3:4]
	s_delay_alu instid0(VALU_DEP_1) | instskip(NEXT) | instid1(VALU_DEP_1)
	v_add_co_u32 v29, s0, s28, v29
	v_add_co_ci_u32_e64 v30, s0, s29, v30, s0
	global_load_b32 v1, v[29:30], off
	s_waitcnt vmcnt(0)
	v_fmac_f32_e32 v1, s20, v2
	global_store_b32 v[29:30], v1, off
	s_branch .LBB54_42
.LBB54_87:
	s_mov_b32 s0, exec_lo
	v_cmpx_eq_u32_e32 0xff, v0
	s_cbranch_execz .LBB54_89
; %bb.88:
	s_mov_b32 s23, 0
	v_dual_mov_b32 v0, 0 :: v_dual_mul_f32 v1, s20, v2
	s_lshl_b64 s[0:1], s[22:23], 2
	s_waitcnt lgkmcnt(0)
	s_add_u32 s2, s12, s0
	s_addc_u32 s3, s13, s1
	s_add_u32 s0, s14, s0
	s_addc_u32 s1, s15, s1
	s_clause 0x1
	global_store_b32 v0, v3, s[2:3] glc slc dlc
	global_store_b32 v0, v1, s[0:1] glc slc dlc
.LBB54_89:
	s_nop 0
	s_sendmsg sendmsg(MSG_DEALLOC_VGPRS)
	s_endpgm
	.section	.rodata,"a",@progbits
	.p2align	6, 0x0
	.amdhsa_kernel _ZN9rocsparseL26coomvn_aos_segmented_loopsILj256Ei18rocsparse_bfloat16S1_ffEEvlT0_NS_24const_host_device_scalarIT4_EEPKS2_PKT1_PKT2_PT3_PS2_PS4_21rocsparse_index_base_b
		.amdhsa_group_segment_fixed_size 2048
		.amdhsa_private_segment_fixed_size 0
		.amdhsa_kernarg_size 80
		.amdhsa_user_sgpr_count 15
		.amdhsa_user_sgpr_dispatch_ptr 0
		.amdhsa_user_sgpr_queue_ptr 0
		.amdhsa_user_sgpr_kernarg_segment_ptr 1
		.amdhsa_user_sgpr_dispatch_id 0
		.amdhsa_user_sgpr_private_segment_size 0
		.amdhsa_wavefront_size32 1
		.amdhsa_uses_dynamic_stack 0
		.amdhsa_enable_private_segment 0
		.amdhsa_system_sgpr_workgroup_id_x 1
		.amdhsa_system_sgpr_workgroup_id_y 0
		.amdhsa_system_sgpr_workgroup_id_z 0
		.amdhsa_system_sgpr_workgroup_info 0
		.amdhsa_system_vgpr_workitem_id 0
		.amdhsa_next_free_vgpr 31
		.amdhsa_next_free_sgpr 32
		.amdhsa_reserve_vcc 1
		.amdhsa_float_round_mode_32 0
		.amdhsa_float_round_mode_16_64 0
		.amdhsa_float_denorm_mode_32 3
		.amdhsa_float_denorm_mode_16_64 3
		.amdhsa_dx10_clamp 1
		.amdhsa_ieee_mode 1
		.amdhsa_fp16_overflow 0
		.amdhsa_workgroup_processor_mode 1
		.amdhsa_memory_ordered 1
		.amdhsa_forward_progress 0
		.amdhsa_shared_vgpr_count 0
		.amdhsa_exception_fp_ieee_invalid_op 0
		.amdhsa_exception_fp_denorm_src 0
		.amdhsa_exception_fp_ieee_div_zero 0
		.amdhsa_exception_fp_ieee_overflow 0
		.amdhsa_exception_fp_ieee_underflow 0
		.amdhsa_exception_fp_ieee_inexact 0
		.amdhsa_exception_int_div_zero 0
	.end_amdhsa_kernel
	.section	.text._ZN9rocsparseL26coomvn_aos_segmented_loopsILj256Ei18rocsparse_bfloat16S1_ffEEvlT0_NS_24const_host_device_scalarIT4_EEPKS2_PKT1_PKT2_PT3_PS2_PS4_21rocsparse_index_base_b,"axG",@progbits,_ZN9rocsparseL26coomvn_aos_segmented_loopsILj256Ei18rocsparse_bfloat16S1_ffEEvlT0_NS_24const_host_device_scalarIT4_EEPKS2_PKT1_PKT2_PT3_PS2_PS4_21rocsparse_index_base_b,comdat
.Lfunc_end54:
	.size	_ZN9rocsparseL26coomvn_aos_segmented_loopsILj256Ei18rocsparse_bfloat16S1_ffEEvlT0_NS_24const_host_device_scalarIT4_EEPKS2_PKT1_PKT2_PT3_PS2_PS4_21rocsparse_index_base_b, .Lfunc_end54-_ZN9rocsparseL26coomvn_aos_segmented_loopsILj256Ei18rocsparse_bfloat16S1_ffEEvlT0_NS_24const_host_device_scalarIT4_EEPKS2_PKT1_PKT2_PT3_PS2_PS4_21rocsparse_index_base_b
                                        ; -- End function
	.section	.AMDGPU.csdata,"",@progbits
; Kernel info:
; codeLenInByte = 3044
; NumSgprs: 34
; NumVgprs: 31
; ScratchSize: 0
; MemoryBound: 0
; FloatMode: 240
; IeeeMode: 1
; LDSByteSize: 2048 bytes/workgroup (compile time only)
; SGPRBlocks: 4
; VGPRBlocks: 3
; NumSGPRsForWavesPerEU: 34
; NumVGPRsForWavesPerEU: 31
; Occupancy: 16
; WaveLimiterHint : 1
; COMPUTE_PGM_RSRC2:SCRATCH_EN: 0
; COMPUTE_PGM_RSRC2:USER_SGPR: 15
; COMPUTE_PGM_RSRC2:TRAP_HANDLER: 0
; COMPUTE_PGM_RSRC2:TGID_X_EN: 1
; COMPUTE_PGM_RSRC2:TGID_Y_EN: 0
; COMPUTE_PGM_RSRC2:TGID_Z_EN: 0
; COMPUTE_PGM_RSRC2:TIDIG_COMP_CNT: 0
	.section	.text._ZN9rocsparseL23coomvn_aos_atomic_loopsILj256ELj1El18rocsparse_bfloat16S1_ffEEvlNS_24const_host_device_scalarIT5_EEPKT1_PKT2_PKT3_PT4_21rocsparse_index_base_b,"axG",@progbits,_ZN9rocsparseL23coomvn_aos_atomic_loopsILj256ELj1El18rocsparse_bfloat16S1_ffEEvlNS_24const_host_device_scalarIT5_EEPKT1_PKT2_PKT3_PT4_21rocsparse_index_base_b,comdat
	.globl	_ZN9rocsparseL23coomvn_aos_atomic_loopsILj256ELj1El18rocsparse_bfloat16S1_ffEEvlNS_24const_host_device_scalarIT5_EEPKT1_PKT2_PKT3_PT4_21rocsparse_index_base_b ; -- Begin function _ZN9rocsparseL23coomvn_aos_atomic_loopsILj256ELj1El18rocsparse_bfloat16S1_ffEEvlNS_24const_host_device_scalarIT5_EEPKT1_PKT2_PKT3_PT4_21rocsparse_index_base_b
	.p2align	8
	.type	_ZN9rocsparseL23coomvn_aos_atomic_loopsILj256ELj1El18rocsparse_bfloat16S1_ffEEvlNS_24const_host_device_scalarIT5_EEPKT1_PKT2_PKT3_PT4_21rocsparse_index_base_b,@function
_ZN9rocsparseL23coomvn_aos_atomic_loopsILj256ELj1El18rocsparse_bfloat16S1_ffEEvlNS_24const_host_device_scalarIT5_EEPKT1_PKT2_PKT3_PT4_21rocsparse_index_base_b: ; @_ZN9rocsparseL23coomvn_aos_atomic_loopsILj256ELj1El18rocsparse_bfloat16S1_ffEEvlNS_24const_host_device_scalarIT5_EEPKT1_PKT2_PKT3_PT4_21rocsparse_index_base_b
; %bb.0:
	s_clause 0x1
	s_load_b64 s[2:3], s[0:1], 0x30
	s_load_b128 s[4:7], s[0:1], 0x0
	s_waitcnt lgkmcnt(0)
	s_bitcmp1_b32 s3, 0
	s_cselect_b32 s3, -1, 0
	s_delay_alu instid0(SALU_CYCLE_1)
	s_and_b32 vcc_lo, exec_lo, s3
	s_cbranch_vccnz .LBB55_2
; %bb.1:
	s_load_b32 s6, s[6:7], 0x0
.LBB55_2:
	s_waitcnt lgkmcnt(0)
	v_cmp_eq_f32_e64 s3, s6, 0
	s_delay_alu instid0(VALU_DEP_1)
	s_and_b32 vcc_lo, exec_lo, s3
	s_cbranch_vccnz .LBB55_44
; %bb.3:
	v_dual_mov_b32 v2, 0 :: v_dual_mov_b32 v3, -1
	v_lshl_or_b32 v1, s15, 8, v0
	v_mov_b32_e32 v4, -1
	s_mov_b32 s3, exec_lo
	s_delay_alu instid0(VALU_DEP_2)
	v_cmpx_gt_i64_e64 s[4:5], v[1:2]
	s_cbranch_execz .LBB55_5
; %bb.4:
	s_clause 0x1
	s_load_b128 s[8:11], s[0:1], 0x10
	s_load_b64 s[4:5], s[0:1], 0x20
	v_lshlrev_b64 v[3:4], 4, v[1:2]
	v_lshlrev_b64 v[1:2], 1, v[1:2]
	s_waitcnt lgkmcnt(0)
	s_delay_alu instid0(VALU_DEP_2) | instskip(NEXT) | instid1(VALU_DEP_3)
	v_add_co_u32 v3, vcc_lo, s8, v3
	v_add_co_ci_u32_e32 v4, vcc_lo, s9, v4, vcc_lo
	global_load_b128 v[3:6], v[3:4], off slc dlc
	s_waitcnt vmcnt(0)
	v_sub_co_u32 v5, vcc_lo, v5, s2
	v_subrev_co_ci_u32_e32 v6, vcc_lo, 0, v6, vcc_lo
	s_delay_alu instid0(VALU_DEP_1) | instskip(NEXT) | instid1(VALU_DEP_1)
	v_lshlrev_b64 v[5:6], 1, v[5:6]
	v_add_co_u32 v5, vcc_lo, s4, v5
	s_delay_alu instid0(VALU_DEP_2)
	v_add_co_ci_u32_e32 v6, vcc_lo, s5, v6, vcc_lo
	v_add_co_u32 v1, vcc_lo, s10, v1
	v_add_co_ci_u32_e32 v2, vcc_lo, s11, v2, vcc_lo
	v_sub_co_u32 v3, vcc_lo, v3, s2
	global_load_u16 v5, v[5:6], off
	global_load_u16 v1, v[1:2], off
	v_subrev_co_ci_u32_e32 v4, vcc_lo, 0, v4, vcc_lo
	s_waitcnt vmcnt(1)
	v_lshlrev_b32_e32 v2, 16, v5
	s_waitcnt vmcnt(0)
	v_lshlrev_b32_e32 v1, 16, v1
	s_delay_alu instid0(VALU_DEP_1)
	v_mul_f32_e32 v2, v1, v2
.LBB55_5:
	s_or_b32 exec_lo, exec_lo, s3
	v_lshlrev_b32_e32 v6, 2, v0
	v_lshlrev_b32_e32 v1, 3, v0
	s_mov_b32 s2, exec_lo
	ds_store_b64 v1, v[3:4]
	ds_store_b32 v6, v2 offset:2048
	v_or_b32_e32 v5, 0x800, v6
	s_waitcnt lgkmcnt(0)
	s_barrier
	buffer_gl0_inv
	v_cmpx_ne_u32_e32 0, v0
	s_cbranch_execz .LBB55_9
; %bb.6:
	v_add_nc_u32_e32 v6, -8, v1
	s_mov_b32 s3, exec_lo
	ds_load_b64 v[6:7], v6
	s_waitcnt lgkmcnt(0)
	v_cmpx_eq_u64_e64 v[3:4], v[6:7]
	s_cbranch_execz .LBB55_8
; %bb.7:
	v_add_nc_u32_e32 v6, -4, v5
	ds_load_b32 v6, v6
	s_waitcnt lgkmcnt(0)
	v_add_f32_e32 v2, v2, v6
.LBB55_8:
	s_or_b32 exec_lo, exec_lo, s3
.LBB55_9:
	s_delay_alu instid0(SALU_CYCLE_1) | instskip(NEXT) | instid1(SALU_CYCLE_1)
	s_or_b32 exec_lo, exec_lo, s2
	s_mov_b32 s2, exec_lo
	s_barrier
	buffer_gl0_inv
	ds_store_b32 v5, v2
	s_waitcnt lgkmcnt(0)
	s_barrier
	buffer_gl0_inv
	v_cmpx_lt_u32_e32 1, v0
	s_cbranch_execz .LBB55_13
; %bb.10:
	v_add_nc_u32_e32 v6, -16, v1
	s_mov_b32 s3, exec_lo
	ds_load_b64 v[6:7], v6
	s_waitcnt lgkmcnt(0)
	v_cmpx_eq_u64_e64 v[3:4], v[6:7]
	s_cbranch_execz .LBB55_12
; %bb.11:
	v_add_nc_u32_e32 v6, -8, v5
	ds_load_b32 v6, v6
	s_waitcnt lgkmcnt(0)
	v_add_f32_e32 v2, v2, v6
.LBB55_12:
	s_or_b32 exec_lo, exec_lo, s3
.LBB55_13:
	s_delay_alu instid0(SALU_CYCLE_1) | instskip(NEXT) | instid1(SALU_CYCLE_1)
	s_or_b32 exec_lo, exec_lo, s2
	s_mov_b32 s2, exec_lo
	s_barrier
	buffer_gl0_inv
	ds_store_b32 v5, v2
	s_waitcnt lgkmcnt(0)
	s_barrier
	buffer_gl0_inv
	v_cmpx_lt_u32_e32 3, v0
	s_cbranch_execz .LBB55_17
; %bb.14:
	v_subrev_nc_u32_e32 v6, 32, v1
	s_mov_b32 s3, exec_lo
	ds_load_b64 v[6:7], v6
	s_waitcnt lgkmcnt(0)
	v_cmpx_eq_u64_e64 v[3:4], v[6:7]
	s_cbranch_execz .LBB55_16
; %bb.15:
	v_add_nc_u32_e32 v6, -16, v5
	ds_load_b32 v6, v6
	s_waitcnt lgkmcnt(0)
	v_add_f32_e32 v2, v2, v6
.LBB55_16:
	s_or_b32 exec_lo, exec_lo, s3
.LBB55_17:
	s_delay_alu instid0(SALU_CYCLE_1) | instskip(NEXT) | instid1(SALU_CYCLE_1)
	s_or_b32 exec_lo, exec_lo, s2
	s_mov_b32 s2, exec_lo
	s_barrier
	buffer_gl0_inv
	ds_store_b32 v5, v2
	s_waitcnt lgkmcnt(0)
	s_barrier
	buffer_gl0_inv
	v_cmpx_lt_u32_e32 7, v0
	s_cbranch_execz .LBB55_21
; %bb.18:
	v_subrev_nc_u32_e32 v6, 64, v1
	s_mov_b32 s3, exec_lo
	ds_load_b64 v[6:7], v6
	s_waitcnt lgkmcnt(0)
	v_cmpx_eq_u64_e64 v[3:4], v[6:7]
	s_cbranch_execz .LBB55_20
; %bb.19:
	v_subrev_nc_u32_e32 v6, 32, v5
	ds_load_b32 v6, v6
	s_waitcnt lgkmcnt(0)
	v_add_f32_e32 v2, v2, v6
.LBB55_20:
	s_or_b32 exec_lo, exec_lo, s3
.LBB55_21:
	s_delay_alu instid0(SALU_CYCLE_1) | instskip(NEXT) | instid1(SALU_CYCLE_1)
	s_or_b32 exec_lo, exec_lo, s2
	s_mov_b32 s2, exec_lo
	s_barrier
	buffer_gl0_inv
	ds_store_b32 v5, v2
	s_waitcnt lgkmcnt(0)
	s_barrier
	buffer_gl0_inv
	v_cmpx_lt_u32_e32 15, v0
	s_cbranch_execz .LBB55_25
; %bb.22:
	v_add_nc_u32_e32 v6, 0xffffff80, v1
	s_mov_b32 s3, exec_lo
	ds_load_b64 v[6:7], v6
	s_waitcnt lgkmcnt(0)
	v_cmpx_eq_u64_e64 v[3:4], v[6:7]
	s_cbranch_execz .LBB55_24
; %bb.23:
	v_subrev_nc_u32_e32 v6, 64, v5
	ds_load_b32 v6, v6
	s_waitcnt lgkmcnt(0)
	v_add_f32_e32 v2, v2, v6
.LBB55_24:
	s_or_b32 exec_lo, exec_lo, s3
.LBB55_25:
	s_delay_alu instid0(SALU_CYCLE_1) | instskip(NEXT) | instid1(SALU_CYCLE_1)
	s_or_b32 exec_lo, exec_lo, s2
	s_mov_b32 s2, exec_lo
	s_barrier
	buffer_gl0_inv
	ds_store_b32 v5, v2
	s_waitcnt lgkmcnt(0)
	s_barrier
	buffer_gl0_inv
	v_cmpx_lt_u32_e32 31, v0
	s_cbranch_execz .LBB55_29
; %bb.26:
	v_add_nc_u32_e32 v6, 0xffffff00, v1
	s_mov_b32 s3, exec_lo
	ds_load_b64 v[6:7], v6
	s_waitcnt lgkmcnt(0)
	v_cmpx_eq_u64_e64 v[3:4], v[6:7]
	s_cbranch_execz .LBB55_28
; %bb.27:
	v_add_nc_u32_e32 v6, 0xffffff80, v5
	ds_load_b32 v6, v6
	s_waitcnt lgkmcnt(0)
	v_add_f32_e32 v2, v2, v6
.LBB55_28:
	s_or_b32 exec_lo, exec_lo, s3
.LBB55_29:
	s_delay_alu instid0(SALU_CYCLE_1) | instskip(NEXT) | instid1(SALU_CYCLE_1)
	s_or_b32 exec_lo, exec_lo, s2
	s_mov_b32 s2, exec_lo
	s_barrier
	buffer_gl0_inv
	ds_store_b32 v5, v2
	s_waitcnt lgkmcnt(0)
	s_barrier
	buffer_gl0_inv
	v_cmpx_lt_u32_e32 63, v0
	s_cbranch_execz .LBB55_33
; %bb.30:
	v_add_nc_u32_e32 v6, 0xfffffe00, v1
	s_mov_b32 s3, exec_lo
	ds_load_b64 v[6:7], v6
	s_waitcnt lgkmcnt(0)
	v_cmpx_eq_u64_e64 v[3:4], v[6:7]
	s_cbranch_execz .LBB55_32
; %bb.31:
	v_add_nc_u32_e32 v6, 0xffffff00, v5
	ds_load_b32 v6, v6
	s_waitcnt lgkmcnt(0)
	v_add_f32_e32 v2, v2, v6
.LBB55_32:
	s_or_b32 exec_lo, exec_lo, s3
.LBB55_33:
	s_delay_alu instid0(SALU_CYCLE_1)
	s_or_b32 exec_lo, exec_lo, s2
	s_load_b64 s[2:3], s[0:1], 0x28
	s_mov_b32 s0, exec_lo
	s_waitcnt lgkmcnt(0)
	s_barrier
	buffer_gl0_inv
	ds_store_b32 v5, v2
	s_waitcnt lgkmcnt(0)
	s_barrier
	buffer_gl0_inv
	v_cmpx_lt_u32_e32 0x7f, v0
	s_cbranch_execz .LBB55_37
; %bb.34:
	v_add_nc_u32_e32 v6, 0xfffffc00, v1
	s_mov_b32 s1, exec_lo
	ds_load_b64 v[6:7], v6
	s_waitcnt lgkmcnt(0)
	v_cmpx_eq_u64_e64 v[3:4], v[6:7]
	s_cbranch_execz .LBB55_36
; %bb.35:
	v_add_nc_u32_e32 v6, 0xfffffe00, v5
	ds_load_b32 v6, v6
	s_waitcnt lgkmcnt(0)
	v_add_f32_e32 v2, v2, v6
.LBB55_36:
	s_or_b32 exec_lo, exec_lo, s1
.LBB55_37:
	s_delay_alu instid0(SALU_CYCLE_1) | instskip(NEXT) | instid1(SALU_CYCLE_1)
	s_or_b32 exec_lo, exec_lo, s0
	s_mov_b32 s1, exec_lo
	s_barrier
	buffer_gl0_inv
	ds_store_b32 v5, v2
	s_waitcnt lgkmcnt(0)
	s_barrier
	buffer_gl0_inv
	v_cmpx_gt_u32_e32 0xff, v0
	s_cbranch_execz .LBB55_41
; %bb.38:
	ds_load_b64 v[5:6], v1 offset:8
	v_cmp_lt_i64_e64 s0, -1, v[3:4]
	s_waitcnt lgkmcnt(0)
	v_cmp_ne_u64_e32 vcc_lo, v[3:4], v[5:6]
	s_delay_alu instid0(VALU_DEP_2) | instskip(NEXT) | instid1(SALU_CYCLE_1)
	s_and_b32 s0, s0, vcc_lo
	s_and_b32 exec_lo, exec_lo, s0
	s_cbranch_execz .LBB55_41
; %bb.39:
	v_lshlrev_b64 v[5:6], 2, v[3:4]
	v_mul_f32_e32 v1, s6, v2
	s_mov_b32 s0, 0
	s_delay_alu instid0(VALU_DEP_2) | instskip(NEXT) | instid1(VALU_DEP_3)
	v_add_co_u32 v5, vcc_lo, s2, v5
	v_add_co_ci_u32_e32 v6, vcc_lo, s3, v6, vcc_lo
	global_load_b32 v8, v[5:6], off
.LBB55_40:                              ; =>This Inner Loop Header: Depth=1
	s_waitcnt vmcnt(0)
	v_add_f32_e32 v7, v8, v1
	global_atomic_cmpswap_b32 v7, v[5:6], v[7:8], off glc
	s_waitcnt vmcnt(0)
	v_cmp_eq_u32_e32 vcc_lo, v7, v8
	v_mov_b32_e32 v8, v7
	s_or_b32 s0, vcc_lo, s0
	s_delay_alu instid0(SALU_CYCLE_1)
	s_and_not1_b32 exec_lo, exec_lo, s0
	s_cbranch_execnz .LBB55_40
.LBB55_41:
	s_or_b32 exec_lo, exec_lo, s1
	v_cmp_lt_i64_e32 vcc_lo, -1, v[3:4]
	v_cmp_eq_u32_e64 s0, 0xff, v0
	s_delay_alu instid0(VALU_DEP_1) | instskip(NEXT) | instid1(SALU_CYCLE_1)
	s_and_b32 s0, s0, vcc_lo
	s_and_saveexec_b32 s1, s0
	s_cbranch_execz .LBB55_44
; %bb.42:
	v_lshlrev_b64 v[0:1], 2, v[3:4]
	v_mul_f32_e32 v4, s6, v2
	s_mov_b32 s0, 0
	s_delay_alu instid0(VALU_DEP_2) | instskip(NEXT) | instid1(VALU_DEP_3)
	v_add_co_u32 v0, vcc_lo, s2, v0
	v_add_co_ci_u32_e32 v1, vcc_lo, s3, v1, vcc_lo
	global_load_b32 v3, v[0:1], off
.LBB55_43:                              ; =>This Inner Loop Header: Depth=1
	s_waitcnt vmcnt(0)
	v_add_f32_e32 v2, v3, v4
	global_atomic_cmpswap_b32 v2, v[0:1], v[2:3], off glc
	s_waitcnt vmcnt(0)
	v_cmp_eq_u32_e32 vcc_lo, v2, v3
	v_mov_b32_e32 v3, v2
	s_or_b32 s0, vcc_lo, s0
	s_delay_alu instid0(SALU_CYCLE_1)
	s_and_not1_b32 exec_lo, exec_lo, s0
	s_cbranch_execnz .LBB55_43
.LBB55_44:
	s_endpgm
	.section	.rodata,"a",@progbits
	.p2align	6, 0x0
	.amdhsa_kernel _ZN9rocsparseL23coomvn_aos_atomic_loopsILj256ELj1El18rocsparse_bfloat16S1_ffEEvlNS_24const_host_device_scalarIT5_EEPKT1_PKT2_PKT3_PT4_21rocsparse_index_base_b
		.amdhsa_group_segment_fixed_size 3072
		.amdhsa_private_segment_fixed_size 0
		.amdhsa_kernarg_size 56
		.amdhsa_user_sgpr_count 15
		.amdhsa_user_sgpr_dispatch_ptr 0
		.amdhsa_user_sgpr_queue_ptr 0
		.amdhsa_user_sgpr_kernarg_segment_ptr 1
		.amdhsa_user_sgpr_dispatch_id 0
		.amdhsa_user_sgpr_private_segment_size 0
		.amdhsa_wavefront_size32 1
		.amdhsa_uses_dynamic_stack 0
		.amdhsa_enable_private_segment 0
		.amdhsa_system_sgpr_workgroup_id_x 1
		.amdhsa_system_sgpr_workgroup_id_y 0
		.amdhsa_system_sgpr_workgroup_id_z 0
		.amdhsa_system_sgpr_workgroup_info 0
		.amdhsa_system_vgpr_workitem_id 0
		.amdhsa_next_free_vgpr 9
		.amdhsa_next_free_sgpr 16
		.amdhsa_reserve_vcc 1
		.amdhsa_float_round_mode_32 0
		.amdhsa_float_round_mode_16_64 0
		.amdhsa_float_denorm_mode_32 3
		.amdhsa_float_denorm_mode_16_64 3
		.amdhsa_dx10_clamp 1
		.amdhsa_ieee_mode 1
		.amdhsa_fp16_overflow 0
		.amdhsa_workgroup_processor_mode 1
		.amdhsa_memory_ordered 1
		.amdhsa_forward_progress 0
		.amdhsa_shared_vgpr_count 0
		.amdhsa_exception_fp_ieee_invalid_op 0
		.amdhsa_exception_fp_denorm_src 0
		.amdhsa_exception_fp_ieee_div_zero 0
		.amdhsa_exception_fp_ieee_overflow 0
		.amdhsa_exception_fp_ieee_underflow 0
		.amdhsa_exception_fp_ieee_inexact 0
		.amdhsa_exception_int_div_zero 0
	.end_amdhsa_kernel
	.section	.text._ZN9rocsparseL23coomvn_aos_atomic_loopsILj256ELj1El18rocsparse_bfloat16S1_ffEEvlNS_24const_host_device_scalarIT5_EEPKT1_PKT2_PKT3_PT4_21rocsparse_index_base_b,"axG",@progbits,_ZN9rocsparseL23coomvn_aos_atomic_loopsILj256ELj1El18rocsparse_bfloat16S1_ffEEvlNS_24const_host_device_scalarIT5_EEPKT1_PKT2_PKT3_PT4_21rocsparse_index_base_b,comdat
.Lfunc_end55:
	.size	_ZN9rocsparseL23coomvn_aos_atomic_loopsILj256ELj1El18rocsparse_bfloat16S1_ffEEvlNS_24const_host_device_scalarIT5_EEPKT1_PKT2_PKT3_PT4_21rocsparse_index_base_b, .Lfunc_end55-_ZN9rocsparseL23coomvn_aos_atomic_loopsILj256ELj1El18rocsparse_bfloat16S1_ffEEvlNS_24const_host_device_scalarIT5_EEPKT1_PKT2_PKT3_PT4_21rocsparse_index_base_b
                                        ; -- End function
	.section	.AMDGPU.csdata,"",@progbits
; Kernel info:
; codeLenInByte = 1544
; NumSgprs: 18
; NumVgprs: 9
; ScratchSize: 0
; MemoryBound: 0
; FloatMode: 240
; IeeeMode: 1
; LDSByteSize: 3072 bytes/workgroup (compile time only)
; SGPRBlocks: 2
; VGPRBlocks: 1
; NumSGPRsForWavesPerEU: 18
; NumVGPRsForWavesPerEU: 9
; Occupancy: 16
; WaveLimiterHint : 1
; COMPUTE_PGM_RSRC2:SCRATCH_EN: 0
; COMPUTE_PGM_RSRC2:USER_SGPR: 15
; COMPUTE_PGM_RSRC2:TRAP_HANDLER: 0
; COMPUTE_PGM_RSRC2:TGID_X_EN: 1
; COMPUTE_PGM_RSRC2:TGID_Y_EN: 0
; COMPUTE_PGM_RSRC2:TGID_Z_EN: 0
; COMPUTE_PGM_RSRC2:TIDIG_COMP_CNT: 0
	.section	.text._ZN9rocsparseL17coomvt_aos_kernelILj1024El18rocsparse_bfloat16S1_ffEEv20rocsparse_operation_lNS_24const_host_device_scalarIT4_EEPKT0_PKT1_PKT2_PT3_21rocsparse_index_base_b,"axG",@progbits,_ZN9rocsparseL17coomvt_aos_kernelILj1024El18rocsparse_bfloat16S1_ffEEv20rocsparse_operation_lNS_24const_host_device_scalarIT4_EEPKT0_PKT1_PKT2_PT3_21rocsparse_index_base_b,comdat
	.globl	_ZN9rocsparseL17coomvt_aos_kernelILj1024El18rocsparse_bfloat16S1_ffEEv20rocsparse_operation_lNS_24const_host_device_scalarIT4_EEPKT0_PKT1_PKT2_PT3_21rocsparse_index_base_b ; -- Begin function _ZN9rocsparseL17coomvt_aos_kernelILj1024El18rocsparse_bfloat16S1_ffEEv20rocsparse_operation_lNS_24const_host_device_scalarIT4_EEPKT0_PKT1_PKT2_PT3_21rocsparse_index_base_b
	.p2align	8
	.type	_ZN9rocsparseL17coomvt_aos_kernelILj1024El18rocsparse_bfloat16S1_ffEEv20rocsparse_operation_lNS_24const_host_device_scalarIT4_EEPKT0_PKT1_PKT2_PT3_21rocsparse_index_base_b,@function
_ZN9rocsparseL17coomvt_aos_kernelILj1024El18rocsparse_bfloat16S1_ffEEv20rocsparse_operation_lNS_24const_host_device_scalarIT4_EEPKT0_PKT1_PKT2_PT3_21rocsparse_index_base_b: ; @_ZN9rocsparseL17coomvt_aos_kernelILj1024El18rocsparse_bfloat16S1_ffEEv20rocsparse_operation_lNS_24const_host_device_scalarIT4_EEPKT0_PKT1_PKT2_PT3_21rocsparse_index_base_b
; %bb.0:
	s_clause 0x1
	s_load_b64 s[12:13], s[0:1], 0x38
	s_load_b128 s[8:11], s[0:1], 0x8
	s_waitcnt lgkmcnt(0)
	s_bitcmp1_b32 s13, 0
	s_cselect_b32 s2, -1, 0
	s_delay_alu instid0(SALU_CYCLE_1)
	s_and_b32 vcc_lo, exec_lo, s2
	s_cbranch_vccnz .LBB56_2
; %bb.1:
	s_load_b32 s10, s[10:11], 0x0
.LBB56_2:
	s_waitcnt lgkmcnt(0)
	v_cmp_eq_f32_e64 s2, s10, 0
	s_delay_alu instid0(VALU_DEP_1)
	s_and_b32 vcc_lo, exec_lo, s2
	s_cbranch_vccnz .LBB56_6
; %bb.3:
	s_load_b32 s2, s[0:1], 0x4c
	s_waitcnt lgkmcnt(0)
	s_and_b32 s2, s2, 0xffff
	s_delay_alu instid0(SALU_CYCLE_1) | instskip(SKIP_2) | instid1(VALU_DEP_1)
	v_mad_u64_u32 v[1:2], null, s15, s2, v[0:1]
	v_mov_b32_e32 v2, 0
	s_mov_b32 s2, exec_lo
	v_cmpx_gt_i64_e64 s[8:9], v[1:2]
	s_cbranch_execz .LBB56_6
; %bb.4:
	s_load_b256 s[0:7], s[0:1], 0x18
	v_lshlrev_b64 v[3:4], 4, v[1:2]
	v_lshlrev_b64 v[0:1], 1, v[1:2]
	s_waitcnt lgkmcnt(0)
	s_delay_alu instid0(VALU_DEP_2) | instskip(NEXT) | instid1(VALU_DEP_3)
	v_add_co_u32 v3, vcc_lo, s0, v3
	v_add_co_ci_u32_e32 v4, vcc_lo, s1, v4, vcc_lo
	s_delay_alu instid0(VALU_DEP_3) | instskip(NEXT) | instid1(VALU_DEP_4)
	v_add_co_u32 v0, vcc_lo, s2, v0
	v_add_co_ci_u32_e32 v1, vcc_lo, s3, v1, vcc_lo
	global_load_b128 v[3:6], v[3:4], off
	s_mov_b32 s0, 0
	s_waitcnt vmcnt(0)
	v_sub_co_u32 v2, vcc_lo, v3, s12
	v_subrev_co_ci_u32_e32 v3, vcc_lo, 0, v4, vcc_lo
	global_load_u16 v4, v[0:1], off
	v_lshlrev_b64 v[0:1], 1, v[2:3]
	v_sub_co_u32 v2, vcc_lo, v5, s12
	v_subrev_co_ci_u32_e32 v3, vcc_lo, 0, v6, vcc_lo
	s_delay_alu instid0(VALU_DEP_3) | instskip(NEXT) | instid1(VALU_DEP_4)
	v_add_co_u32 v0, vcc_lo, s4, v0
	v_add_co_ci_u32_e32 v1, vcc_lo, s5, v1, vcc_lo
	s_delay_alu instid0(VALU_DEP_3)
	v_lshlrev_b64 v[2:3], 2, v[2:3]
	global_load_u16 v5, v[0:1], off
	v_add_co_u32 v0, vcc_lo, s6, v2
	v_add_co_ci_u32_e32 v1, vcc_lo, s7, v3, vcc_lo
	global_load_b32 v3, v[0:1], off
	s_waitcnt vmcnt(2)
	v_lshlrev_b32_e32 v2, 16, v4
	s_delay_alu instid0(VALU_DEP_1) | instskip(SKIP_2) | instid1(VALU_DEP_1)
	v_mul_f32_e32 v2, s10, v2
	s_waitcnt vmcnt(1)
	v_lshlrev_b32_e32 v4, 16, v5
	v_mul_f32_e32 v4, v2, v4
.LBB56_5:                               ; =>This Inner Loop Header: Depth=1
	s_waitcnt vmcnt(0)
	s_delay_alu instid0(VALU_DEP_1)
	v_add_f32_e32 v2, v3, v4
	global_atomic_cmpswap_b32 v2, v[0:1], v[2:3], off glc
	s_waitcnt vmcnt(0)
	v_cmp_eq_u32_e32 vcc_lo, v2, v3
	v_mov_b32_e32 v3, v2
	s_or_b32 s0, vcc_lo, s0
	s_delay_alu instid0(SALU_CYCLE_1)
	s_and_not1_b32 exec_lo, exec_lo, s0
	s_cbranch_execnz .LBB56_5
.LBB56_6:
	s_endpgm
	.section	.rodata,"a",@progbits
	.p2align	6, 0x0
	.amdhsa_kernel _ZN9rocsparseL17coomvt_aos_kernelILj1024El18rocsparse_bfloat16S1_ffEEv20rocsparse_operation_lNS_24const_host_device_scalarIT4_EEPKT0_PKT1_PKT2_PT3_21rocsparse_index_base_b
		.amdhsa_group_segment_fixed_size 0
		.amdhsa_private_segment_fixed_size 0
		.amdhsa_kernarg_size 320
		.amdhsa_user_sgpr_count 15
		.amdhsa_user_sgpr_dispatch_ptr 0
		.amdhsa_user_sgpr_queue_ptr 0
		.amdhsa_user_sgpr_kernarg_segment_ptr 1
		.amdhsa_user_sgpr_dispatch_id 0
		.amdhsa_user_sgpr_private_segment_size 0
		.amdhsa_wavefront_size32 1
		.amdhsa_uses_dynamic_stack 0
		.amdhsa_enable_private_segment 0
		.amdhsa_system_sgpr_workgroup_id_x 1
		.amdhsa_system_sgpr_workgroup_id_y 0
		.amdhsa_system_sgpr_workgroup_id_z 0
		.amdhsa_system_sgpr_workgroup_info 0
		.amdhsa_system_vgpr_workitem_id 0
		.amdhsa_next_free_vgpr 7
		.amdhsa_next_free_sgpr 16
		.amdhsa_reserve_vcc 1
		.amdhsa_float_round_mode_32 0
		.amdhsa_float_round_mode_16_64 0
		.amdhsa_float_denorm_mode_32 3
		.amdhsa_float_denorm_mode_16_64 3
		.amdhsa_dx10_clamp 1
		.amdhsa_ieee_mode 1
		.amdhsa_fp16_overflow 0
		.amdhsa_workgroup_processor_mode 1
		.amdhsa_memory_ordered 1
		.amdhsa_forward_progress 0
		.amdhsa_shared_vgpr_count 0
		.amdhsa_exception_fp_ieee_invalid_op 0
		.amdhsa_exception_fp_denorm_src 0
		.amdhsa_exception_fp_ieee_div_zero 0
		.amdhsa_exception_fp_ieee_overflow 0
		.amdhsa_exception_fp_ieee_underflow 0
		.amdhsa_exception_fp_ieee_inexact 0
		.amdhsa_exception_int_div_zero 0
	.end_amdhsa_kernel
	.section	.text._ZN9rocsparseL17coomvt_aos_kernelILj1024El18rocsparse_bfloat16S1_ffEEv20rocsparse_operation_lNS_24const_host_device_scalarIT4_EEPKT0_PKT1_PKT2_PT3_21rocsparse_index_base_b,"axG",@progbits,_ZN9rocsparseL17coomvt_aos_kernelILj1024El18rocsparse_bfloat16S1_ffEEv20rocsparse_operation_lNS_24const_host_device_scalarIT4_EEPKT0_PKT1_PKT2_PT3_21rocsparse_index_base_b,comdat
.Lfunc_end56:
	.size	_ZN9rocsparseL17coomvt_aos_kernelILj1024El18rocsparse_bfloat16S1_ffEEv20rocsparse_operation_lNS_24const_host_device_scalarIT4_EEPKT0_PKT1_PKT2_PT3_21rocsparse_index_base_b, .Lfunc_end56-_ZN9rocsparseL17coomvt_aos_kernelILj1024El18rocsparse_bfloat16S1_ffEEv20rocsparse_operation_lNS_24const_host_device_scalarIT4_EEPKT0_PKT1_PKT2_PT3_21rocsparse_index_base_b
                                        ; -- End function
	.section	.AMDGPU.csdata,"",@progbits
; Kernel info:
; codeLenInByte = 380
; NumSgprs: 18
; NumVgprs: 7
; ScratchSize: 0
; MemoryBound: 0
; FloatMode: 240
; IeeeMode: 1
; LDSByteSize: 0 bytes/workgroup (compile time only)
; SGPRBlocks: 2
; VGPRBlocks: 0
; NumSGPRsForWavesPerEU: 18
; NumVGPRsForWavesPerEU: 7
; Occupancy: 16
; WaveLimiterHint : 1
; COMPUTE_PGM_RSRC2:SCRATCH_EN: 0
; COMPUTE_PGM_RSRC2:USER_SGPR: 15
; COMPUTE_PGM_RSRC2:TRAP_HANDLER: 0
; COMPUTE_PGM_RSRC2:TGID_X_EN: 1
; COMPUTE_PGM_RSRC2:TGID_Y_EN: 0
; COMPUTE_PGM_RSRC2:TGID_Z_EN: 0
; COMPUTE_PGM_RSRC2:TIDIG_COMP_CNT: 0
	.section	.text._ZN9rocsparseL26coomvn_aos_segmented_loopsILj256El18rocsparse_bfloat16S1_ffEEvlT0_NS_24const_host_device_scalarIT4_EEPKS2_PKT1_PKT2_PT3_PS2_PS4_21rocsparse_index_base_b,"axG",@progbits,_ZN9rocsparseL26coomvn_aos_segmented_loopsILj256El18rocsparse_bfloat16S1_ffEEvlT0_NS_24const_host_device_scalarIT4_EEPKS2_PKT1_PKT2_PT3_PS2_PS4_21rocsparse_index_base_b,comdat
	.globl	_ZN9rocsparseL26coomvn_aos_segmented_loopsILj256El18rocsparse_bfloat16S1_ffEEvlT0_NS_24const_host_device_scalarIT4_EEPKS2_PKT1_PKT2_PT3_PS2_PS4_21rocsparse_index_base_b ; -- Begin function _ZN9rocsparseL26coomvn_aos_segmented_loopsILj256El18rocsparse_bfloat16S1_ffEEvlT0_NS_24const_host_device_scalarIT4_EEPKS2_PKT1_PKT2_PT3_PS2_PS4_21rocsparse_index_base_b
	.p2align	8
	.type	_ZN9rocsparseL26coomvn_aos_segmented_loopsILj256El18rocsparse_bfloat16S1_ffEEvlT0_NS_24const_host_device_scalarIT4_EEPKS2_PKT1_PKT2_PT3_PS2_PS4_21rocsparse_index_base_b,@function
_ZN9rocsparseL26coomvn_aos_segmented_loopsILj256El18rocsparse_bfloat16S1_ffEEvlT0_NS_24const_host_device_scalarIT4_EEPKS2_PKT1_PKT2_PT3_PS2_PS4_21rocsparse_index_base_b: ; @_ZN9rocsparseL26coomvn_aos_segmented_loopsILj256El18rocsparse_bfloat16S1_ffEEvlT0_NS_24const_host_device_scalarIT4_EEPKS2_PKT1_PKT2_PT3_PS2_PS4_21rocsparse_index_base_b
; %bb.0:
	s_clause 0x1
	s_load_b64 s[28:29], s[0:1], 0x48
	s_load_b64 s[26:27], s[0:1], 0x10
	s_mov_b32 s24, s15
	s_waitcnt lgkmcnt(0)
	s_bitcmp1_b32 s29, 0
	s_cselect_b32 s2, -1, 0
	s_delay_alu instid0(SALU_CYCLE_1)
	s_and_b32 vcc_lo, exec_lo, s2
	s_cbranch_vccnz .LBB57_2
; %bb.1:
	s_load_b32 s26, s[26:27], 0x0
.LBB57_2:
	s_waitcnt lgkmcnt(0)
	v_cmp_eq_f32_e64 s2, s26, 0
	s_mov_b32 s25, 0
	s_delay_alu instid0(VALU_DEP_1)
	s_and_b32 vcc_lo, exec_lo, s2
	s_cbranch_vccnz .LBB57_89
; %bb.3:
	s_clause 0x2
	s_load_b128 s[16:19], s[0:1], 0x0
	s_load_b128 s[20:23], s[0:1], 0x18
	s_load_b64 s[36:37], s[0:1], 0x28
	v_mov_b32_e32 v1, -1
	v_dual_mov_b32 v2, -1 :: v_dual_mov_b32 v15, 0
	s_waitcnt lgkmcnt(0)
	s_mul_i32 s3, s24, s19
	s_mul_hi_u32 s4, s24, s18
	s_mul_i32 s2, s24, s18
	s_add_i32 s3, s4, s3
	s_delay_alu instid0(SALU_CYCLE_1) | instskip(NEXT) | instid1(SALU_CYCLE_1)
	s_lshl_b64 s[2:3], s[2:3], 8
	v_mov_b32_e32 v4, s3
	v_or_b32_e32 v3, s2, v0
	s_mov_b32 s2, exec_lo
	s_delay_alu instid0(VALU_DEP_1)
	v_cmpx_gt_i64_e64 s[16:17], v[3:4]
	s_cbranch_execz .LBB57_5
; %bb.4:
	v_lshlrev_b64 v[1:2], 4, v[3:4]
	s_ashr_i32 s29, s28, 31
	s_delay_alu instid0(SALU_CYCLE_1) | instskip(NEXT) | instid1(VALU_DEP_1)
	s_lshl_b64 s[4:5], s[28:29], 1
	v_add_co_u32 v1, vcc_lo, s20, v1
	s_delay_alu instid0(VALU_DEP_2) | instskip(SKIP_4) | instid1(VALU_DEP_2)
	v_add_co_ci_u32_e32 v2, vcc_lo, s21, v2, vcc_lo
	global_load_b128 v[5:8], v[1:2], off slc dlc
	s_waitcnt vmcnt(0)
	v_lshlrev_b64 v[1:2], 1, v[7:8]
	v_lshlrev_b64 v[7:8], 1, v[3:4]
	v_add_co_u32 v9, vcc_lo, s36, v1
	s_delay_alu instid0(VALU_DEP_3) | instskip(NEXT) | instid1(VALU_DEP_3)
	v_add_co_ci_u32_e32 v10, vcc_lo, s37, v2, vcc_lo
	v_add_co_u32 v1, vcc_lo, s22, v7
	s_delay_alu instid0(VALU_DEP_4) | instskip(NEXT) | instid1(VALU_DEP_4)
	v_add_co_ci_u32_e32 v2, vcc_lo, s23, v8, vcc_lo
	v_sub_co_u32 v7, vcc_lo, v9, s4
	s_delay_alu instid0(VALU_DEP_4)
	v_subrev_co_ci_u32_e32 v8, vcc_lo, s5, v10, vcc_lo
	global_load_u16 v1, v[1:2], off
	global_load_u16 v2, v[7:8], off
	s_waitcnt vmcnt(1)
	v_lshlrev_b32_e32 v7, 16, v1
	s_waitcnt vmcnt(0)
	v_lshlrev_b32_e32 v8, 16, v2
	v_sub_co_u32 v1, vcc_lo, v5, s28
	v_subrev_co_ci_u32_e32 v2, vcc_lo, 0, v6, vcc_lo
	s_delay_alu instid0(VALU_DEP_3)
	v_mul_f32_e32 v15, v7, v8
.LBB57_5:
	s_or_b32 exec_lo, exec_lo, s2
	v_lshlrev_b32_e32 v5, 2, v0
	v_lshlrev_b32_e32 v11, 3, v0
	v_cmp_eq_u32_e64 s2, 0, v0
	v_cmp_ne_u32_e64 s3, 0, v0
	ds_store_b64 v11, v[1:2]
	ds_store_b32 v5, v15 offset:2048
	v_or_b32_e32 v12, 0x800, v5
	v_add_nc_u32_e32 v13, -8, v11
	s_waitcnt lgkmcnt(0)
	s_barrier
	buffer_gl0_inv
	s_and_saveexec_b32 s4, s3
	s_cbranch_execz .LBB57_9
; %bb.6:
	ds_load_b64 v[5:6], v13
	s_mov_b32 s5, exec_lo
	s_waitcnt lgkmcnt(0)
	v_cmpx_eq_u64_e64 v[1:2], v[5:6]
	s_cbranch_execz .LBB57_8
; %bb.7:
	v_add_nc_u32_e32 v5, -4, v12
	ds_load_b32 v5, v5
	s_waitcnt lgkmcnt(0)
	v_add_f32_e32 v15, v15, v5
.LBB57_8:
	s_or_b32 exec_lo, exec_lo, s5
.LBB57_9:
	s_delay_alu instid0(SALU_CYCLE_1)
	s_or_b32 exec_lo, exec_lo, s4
	v_cmp_lt_u32_e64 s4, 1, v0
	v_add_nc_u32_e32 v14, -16, v11
	s_barrier
	buffer_gl0_inv
	ds_store_b32 v12, v15
	s_waitcnt lgkmcnt(0)
	s_barrier
	buffer_gl0_inv
	s_and_saveexec_b32 s5, s4
	s_cbranch_execz .LBB57_13
; %bb.10:
	ds_load_b64 v[5:6], v14
	s_mov_b32 s6, exec_lo
	s_waitcnt lgkmcnt(0)
	v_cmpx_eq_u64_e64 v[1:2], v[5:6]
	s_cbranch_execz .LBB57_12
; %bb.11:
	v_add_nc_u32_e32 v5, -8, v12
	ds_load_b32 v5, v5
	s_waitcnt lgkmcnt(0)
	v_add_f32_e32 v15, v15, v5
.LBB57_12:
	s_or_b32 exec_lo, exec_lo, s6
.LBB57_13:
	s_delay_alu instid0(SALU_CYCLE_1)
	s_or_b32 exec_lo, exec_lo, s5
	v_cmp_lt_u32_e64 s5, 3, v0
	v_subrev_nc_u32_e32 v16, 32, v11
	s_barrier
	buffer_gl0_inv
	ds_store_b32 v12, v15
	s_waitcnt lgkmcnt(0)
	s_barrier
	buffer_gl0_inv
	s_and_saveexec_b32 s6, s5
	s_cbranch_execz .LBB57_17
; %bb.14:
	ds_load_b64 v[5:6], v16
	s_mov_b32 s7, exec_lo
	s_waitcnt lgkmcnt(0)
	v_cmpx_eq_u64_e64 v[1:2], v[5:6]
	s_cbranch_execz .LBB57_16
; %bb.15:
	v_add_nc_u32_e32 v5, -16, v12
	ds_load_b32 v5, v5
	s_waitcnt lgkmcnt(0)
	v_add_f32_e32 v15, v15, v5
.LBB57_16:
	s_or_b32 exec_lo, exec_lo, s7
.LBB57_17:
	s_delay_alu instid0(SALU_CYCLE_1)
	s_or_b32 exec_lo, exec_lo, s6
	v_cmp_lt_u32_e64 s6, 7, v0
	v_subrev_nc_u32_e32 v17, 64, v11
	s_barrier
	buffer_gl0_inv
	ds_store_b32 v12, v15
	s_waitcnt lgkmcnt(0)
	s_barrier
	buffer_gl0_inv
	s_and_saveexec_b32 s7, s6
	s_cbranch_execz .LBB57_21
; %bb.18:
	ds_load_b64 v[5:6], v17
	s_mov_b32 s8, exec_lo
	s_waitcnt lgkmcnt(0)
	v_cmpx_eq_u64_e64 v[1:2], v[5:6]
	s_cbranch_execz .LBB57_20
; %bb.19:
	v_subrev_nc_u32_e32 v5, 32, v12
	ds_load_b32 v5, v5
	s_waitcnt lgkmcnt(0)
	v_add_f32_e32 v15, v15, v5
.LBB57_20:
	s_or_b32 exec_lo, exec_lo, s8
.LBB57_21:
	s_delay_alu instid0(SALU_CYCLE_1)
	s_or_b32 exec_lo, exec_lo, s7
	v_cmp_lt_u32_e64 s7, 15, v0
	v_add_nc_u32_e32 v18, 0xffffff80, v11
	s_barrier
	buffer_gl0_inv
	ds_store_b32 v12, v15
	s_waitcnt lgkmcnt(0)
	s_barrier
	buffer_gl0_inv
	s_and_saveexec_b32 s8, s7
	s_cbranch_execz .LBB57_25
; %bb.22:
	ds_load_b64 v[5:6], v18
	s_mov_b32 s9, exec_lo
	s_waitcnt lgkmcnt(0)
	v_cmpx_eq_u64_e64 v[1:2], v[5:6]
	s_cbranch_execz .LBB57_24
; %bb.23:
	v_subrev_nc_u32_e32 v5, 64, v12
	ds_load_b32 v5, v5
	s_waitcnt lgkmcnt(0)
	v_add_f32_e32 v15, v15, v5
.LBB57_24:
	s_or_b32 exec_lo, exec_lo, s9
.LBB57_25:
	s_delay_alu instid0(SALU_CYCLE_1)
	s_or_b32 exec_lo, exec_lo, s8
	v_cmp_lt_u32_e64 s8, 31, v0
	v_add_nc_u32_e32 v19, 0xffffff00, v11
	s_barrier
	buffer_gl0_inv
	ds_store_b32 v12, v15
	s_waitcnt lgkmcnt(0)
	s_barrier
	buffer_gl0_inv
	s_and_saveexec_b32 s9, s8
	s_cbranch_execz .LBB57_29
; %bb.26:
	ds_load_b64 v[5:6], v19
	s_mov_b32 s10, exec_lo
	s_waitcnt lgkmcnt(0)
	v_cmpx_eq_u64_e64 v[1:2], v[5:6]
	s_cbranch_execz .LBB57_28
; %bb.27:
	v_add_nc_u32_e32 v5, 0xffffff80, v12
	ds_load_b32 v5, v5
	s_waitcnt lgkmcnt(0)
	v_add_f32_e32 v15, v15, v5
.LBB57_28:
	s_or_b32 exec_lo, exec_lo, s10
.LBB57_29:
	s_delay_alu instid0(SALU_CYCLE_1)
	s_or_b32 exec_lo, exec_lo, s9
	v_cmp_lt_u32_e64 s9, 63, v0
	v_add_nc_u32_e32 v20, 0xfffffe00, v11
	s_barrier
	buffer_gl0_inv
	ds_store_b32 v12, v15
	s_waitcnt lgkmcnt(0)
	s_barrier
	buffer_gl0_inv
	s_and_saveexec_b32 s10, s9
	s_cbranch_execz .LBB57_33
; %bb.30:
	ds_load_b64 v[5:6], v20
	s_mov_b32 s11, exec_lo
	s_waitcnt lgkmcnt(0)
	v_cmpx_eq_u64_e64 v[1:2], v[5:6]
	s_cbranch_execz .LBB57_32
; %bb.31:
	v_add_nc_u32_e32 v5, 0xffffff00, v12
	ds_load_b32 v5, v5
	s_waitcnt lgkmcnt(0)
	v_add_f32_e32 v15, v15, v5
.LBB57_32:
	s_or_b32 exec_lo, exec_lo, s11
.LBB57_33:
	s_delay_alu instid0(SALU_CYCLE_1)
	s_or_b32 exec_lo, exec_lo, s10
	s_load_b64 s[30:31], s[0:1], 0x30
	v_cmp_lt_u32_e64 s10, 0x7f, v0
	v_add_nc_u32_e32 v21, 0xfffffc00, v11
	s_waitcnt lgkmcnt(0)
	s_barrier
	buffer_gl0_inv
	ds_store_b32 v12, v15
	s_waitcnt lgkmcnt(0)
	s_barrier
	buffer_gl0_inv
	s_and_saveexec_b32 s11, s10
	s_cbranch_execz .LBB57_37
; %bb.34:
	ds_load_b64 v[5:6], v21
	s_mov_b32 s12, exec_lo
	s_waitcnt lgkmcnt(0)
	v_cmpx_eq_u64_e64 v[1:2], v[5:6]
	s_cbranch_execz .LBB57_36
; %bb.35:
	v_add_nc_u32_e32 v5, 0xfffffe00, v12
	ds_load_b32 v5, v5
	s_waitcnt lgkmcnt(0)
	v_add_f32_e32 v15, v15, v5
.LBB57_36:
	s_or_b32 exec_lo, exec_lo, s12
.LBB57_37:
	s_delay_alu instid0(SALU_CYCLE_1)
	s_or_b32 exec_lo, exec_lo, s11
	v_cmp_gt_u32_e64 s11, 0xff, v0
	s_barrier
	buffer_gl0_inv
	ds_store_b32 v12, v15
	s_waitcnt lgkmcnt(0)
	s_barrier
	buffer_gl0_inv
	s_and_saveexec_b32 s13, s11
	s_cbranch_execz .LBB57_40
; %bb.38:
	ds_load_b64 v[5:6], v11 offset:8
	v_cmp_lt_i64_e64 s12, -1, v[1:2]
	s_waitcnt lgkmcnt(0)
	v_cmp_ne_u64_e32 vcc_lo, v[1:2], v[5:6]
	s_delay_alu instid0(VALU_DEP_2) | instskip(NEXT) | instid1(SALU_CYCLE_1)
	s_and_b32 s12, s12, vcc_lo
	s_and_b32 exec_lo, exec_lo, s12
	s_cbranch_execz .LBB57_40
; %bb.39:
	v_lshlrev_b64 v[5:6], 2, v[1:2]
	s_delay_alu instid0(VALU_DEP_1) | instskip(NEXT) | instid1(VALU_DEP_2)
	v_add_co_u32 v5, vcc_lo, s30, v5
	v_add_co_ci_u32_e32 v6, vcc_lo, s31, v6, vcc_lo
	global_load_b32 v7, v[5:6], off
	s_waitcnt vmcnt(0)
	v_fmac_f32_e32 v7, s26, v15
	global_store_b32 v[5:6], v7, off
.LBB57_40:
	s_or_b32 exec_lo, exec_lo, s13
	s_load_b128 s[12:15], s[0:1], 0x38
	v_cmp_lt_i64_e64 s0, s[18:19], 2
	s_delay_alu instid0(VALU_DEP_1)
	s_and_b32 vcc_lo, exec_lo, s0
	s_cbranch_vccnz .LBB57_87
; %bb.41:
	s_add_u32 s34, s18, -1
	s_addc_u32 s35, s19, -1
	s_ashr_i32 s29, s28, 31
	s_mul_i32 s0, s19, s24
	s_lshl_b64 s[38:39], s[28:29], 1
	s_mul_hi_u32 s19, s18, s24
	s_sub_u32 s1, s36, s38
	s_subb_u32 s27, s37, s39
	s_add_i32 s19, s19, s0
	s_mul_i32 s18, s18, s24
	v_lshlrev_b32_e32 v1, 1, v0
	s_lshl_b64 s[36:37], s[18:19], 9
	v_lshlrev_b32_e32 v2, 4, v0
	s_add_u32 s0, s22, s36
	s_addc_u32 s22, s23, s37
	s_lshl_b64 s[18:19], s[18:19], 12
	v_add_co_u32 v1, s0, s0, v1
	s_delay_alu instid0(VALU_DEP_1) | instskip(SKIP_3) | instid1(VALU_DEP_1)
	v_add_co_ci_u32_e64 v6, null, s22, 0, s0
	s_add_u32 s0, s20, s18
	s_addc_u32 s18, s21, s19
	v_add_co_u32 v2, s0, s0, v2
	v_add_co_ci_u32_e64 v8, null, s18, 0, s0
	v_add_co_u32 v5, vcc_lo, 0x200, v1
	v_add_co_ci_u32_e32 v6, vcc_lo, 0, v6, vcc_lo
	s_delay_alu instid0(VALU_DEP_4) | instskip(NEXT) | instid1(VALU_DEP_4)
	v_add_co_u32 v7, vcc_lo, 0x1008, v2
	v_add_co_ci_u32_e32 v8, vcc_lo, 0, v8, vcc_lo
	v_add_co_u32 v3, vcc_lo, 0x100, v3
	v_add_nc_u32_e32 v22, -4, v12
	v_dual_mov_b32 v30, 0 :: v_dual_add_nc_u32 v23, -8, v12
	v_add_nc_u32_e32 v24, -16, v12
	v_subrev_nc_u32_e32 v25, 32, v12
	v_subrev_nc_u32_e32 v26, 64, v12
	v_add_nc_u32_e32 v27, 0xffffff80, v12
	v_add_nc_u32_e32 v28, 0xffffff00, v12
	;; [unrolled: 1-line block ×3, first 2 shown]
	v_add_co_ci_u32_e32 v4, vcc_lo, 0, v4, vcc_lo
	s_mov_b64 s[18:19], 0
	s_branch .LBB57_43
.LBB57_42:                              ;   in Loop: Header=BB57_43 Depth=1
	s_or_b32 exec_lo, exec_lo, s20
	v_add_co_u32 v5, vcc_lo, 0x200, v5
	s_add_u32 s18, s18, 1
	v_add_co_ci_u32_e32 v6, vcc_lo, 0, v6, vcc_lo
	s_addc_u32 s19, s19, 0
	v_add_co_u32 v7, vcc_lo, 0x1000, v7
	v_cmp_le_u64_e64 s0, s[34:35], s[18:19]
	v_add_co_ci_u32_e32 v8, vcc_lo, 0, v8, vcc_lo
	v_add_co_u32 v3, vcc_lo, 0x100, v3
	v_add_co_ci_u32_e32 v4, vcc_lo, 0, v4, vcc_lo
	s_delay_alu instid0(VALU_DEP_4)
	s_and_b32 vcc_lo, exec_lo, s0
	s_cbranch_vccnz .LBB57_87
.LBB57_43:                              ; =>This Inner Loop Header: Depth=1
	v_mov_b32_e32 v1, -1
	v_dual_mov_b32 v2, -1 :: v_dual_mov_b32 v15, 0
	s_mov_b32 s0, exec_lo
	v_cmpx_gt_i64_e64 s[16:17], v[3:4]
	s_cbranch_execz .LBB57_45
; %bb.44:                               ;   in Loop: Header=BB57_43 Depth=1
	global_load_b128 v[31:34], v[7:8], off offset:-8 slc dlc
	s_waitcnt vmcnt(0)
	v_lshlrev_b64 v[1:2], 1, v[33:34]
	s_delay_alu instid0(VALU_DEP_1) | instskip(NEXT) | instid1(VALU_DEP_2)
	v_add_co_u32 v1, vcc_lo, s1, v1
	v_add_co_ci_u32_e32 v2, vcc_lo, s27, v2, vcc_lo
	global_load_u16 v9, v[5:6], off
	global_load_u16 v1, v[1:2], off
	s_waitcnt vmcnt(1)
	v_lshlrev_b32_e32 v9, 16, v9
	s_waitcnt vmcnt(0)
	v_lshlrev_b32_e32 v10, 16, v1
	v_sub_co_u32 v1, vcc_lo, v31, s28
	v_subrev_co_ci_u32_e32 v2, vcc_lo, 0, v32, vcc_lo
	s_delay_alu instid0(VALU_DEP_3)
	v_mul_f32_e32 v15, v9, v10
.LBB57_45:                              ;   in Loop: Header=BB57_43 Depth=1
	s_or_b32 exec_lo, exec_lo, s0
	s_and_saveexec_b32 s0, s2
	s_cbranch_execz .LBB57_52
; %bb.46:                               ;   in Loop: Header=BB57_43 Depth=1
	ds_load_b64 v[9:10], v30 offset:2040
	s_mov_b32 s20, exec_lo
	s_waitcnt lgkmcnt(0)
	v_cmpx_ne_u64_e64 v[1:2], v[9:10]
	s_xor_b32 s20, exec_lo, s20
	s_cbranch_execz .LBB57_49
; %bb.47:                               ;   in Loop: Header=BB57_43 Depth=1
	v_cmp_gt_i64_e32 vcc_lo, 0, v[9:10]
	s_cbranch_vccnz .LBB57_49
; %bb.48:                               ;   in Loop: Header=BB57_43 Depth=1
	v_lshlrev_b64 v[9:10], 2, v[9:10]
	ds_load_b32 v32, v30 offset:3068
	v_add_co_u32 v9, vcc_lo, s30, v9
	v_add_co_ci_u32_e32 v10, vcc_lo, s31, v10, vcc_lo
	global_load_b32 v31, v[9:10], off
	s_waitcnt vmcnt(0) lgkmcnt(0)
	v_fmac_f32_e32 v31, s26, v32
	global_store_b32 v[9:10], v31, off
.LBB57_49:                              ;   in Loop: Header=BB57_43 Depth=1
	s_and_not1_saveexec_b32 s20, s20
	s_cbranch_execz .LBB57_51
; %bb.50:                               ;   in Loop: Header=BB57_43 Depth=1
	ds_load_b32 v9, v30 offset:3068
	s_waitcnt lgkmcnt(0)
	v_add_f32_e32 v15, v15, v9
.LBB57_51:                              ;   in Loop: Header=BB57_43 Depth=1
	s_or_b32 exec_lo, exec_lo, s20
.LBB57_52:                              ;   in Loop: Header=BB57_43 Depth=1
	s_delay_alu instid0(SALU_CYCLE_1)
	s_or_b32 exec_lo, exec_lo, s0
	s_waitcnt lgkmcnt(0)
	s_waitcnt_vscnt null, 0x0
	s_barrier
	buffer_gl0_inv
	ds_store_b64 v11, v[1:2]
	ds_store_b32 v12, v15
	s_waitcnt lgkmcnt(0)
	s_barrier
	buffer_gl0_inv
	s_and_saveexec_b32 s0, s3
	s_cbranch_execz .LBB57_56
; %bb.53:                               ;   in Loop: Header=BB57_43 Depth=1
	ds_load_b64 v[9:10], v13
	s_mov_b32 s20, exec_lo
	s_waitcnt lgkmcnt(0)
	v_cmpx_eq_u64_e64 v[1:2], v[9:10]
	s_cbranch_execz .LBB57_55
; %bb.54:                               ;   in Loop: Header=BB57_43 Depth=1
	ds_load_b32 v9, v22
	s_waitcnt lgkmcnt(0)
	v_add_f32_e32 v15, v15, v9
.LBB57_55:                              ;   in Loop: Header=BB57_43 Depth=1
	s_or_b32 exec_lo, exec_lo, s20
.LBB57_56:                              ;   in Loop: Header=BB57_43 Depth=1
	s_delay_alu instid0(SALU_CYCLE_1)
	s_or_b32 exec_lo, exec_lo, s0
	s_barrier
	buffer_gl0_inv
	ds_store_b32 v12, v15
	s_waitcnt lgkmcnt(0)
	s_barrier
	buffer_gl0_inv
	s_and_saveexec_b32 s0, s4
	s_cbranch_execz .LBB57_60
; %bb.57:                               ;   in Loop: Header=BB57_43 Depth=1
	ds_load_b64 v[9:10], v14
	s_mov_b32 s20, exec_lo
	s_waitcnt lgkmcnt(0)
	v_cmpx_eq_u64_e64 v[1:2], v[9:10]
	s_cbranch_execz .LBB57_59
; %bb.58:                               ;   in Loop: Header=BB57_43 Depth=1
	ds_load_b32 v9, v23
	s_waitcnt lgkmcnt(0)
	v_add_f32_e32 v15, v15, v9
.LBB57_59:                              ;   in Loop: Header=BB57_43 Depth=1
	s_or_b32 exec_lo, exec_lo, s20
.LBB57_60:                              ;   in Loop: Header=BB57_43 Depth=1
	s_delay_alu instid0(SALU_CYCLE_1)
	s_or_b32 exec_lo, exec_lo, s0
	s_barrier
	buffer_gl0_inv
	;; [unrolled: 23-line block ×8, first 2 shown]
	ds_store_b32 v12, v15
	s_waitcnt lgkmcnt(0)
	s_barrier
	buffer_gl0_inv
	s_and_saveexec_b32 s20, s11
	s_cbranch_execz .LBB57_42
; %bb.85:                               ;   in Loop: Header=BB57_43 Depth=1
	ds_load_b64 v[9:10], v11 offset:8
	v_cmp_lt_i64_e64 s0, -1, v[1:2]
	s_waitcnt lgkmcnt(0)
	v_cmp_ne_u64_e32 vcc_lo, v[1:2], v[9:10]
	s_delay_alu instid0(VALU_DEP_2) | instskip(NEXT) | instid1(SALU_CYCLE_1)
	s_and_b32 s0, s0, vcc_lo
	s_and_b32 exec_lo, exec_lo, s0
	s_cbranch_execz .LBB57_42
; %bb.86:                               ;   in Loop: Header=BB57_43 Depth=1
	v_lshlrev_b64 v[9:10], 2, v[1:2]
	s_delay_alu instid0(VALU_DEP_1) | instskip(NEXT) | instid1(VALU_DEP_2)
	v_add_co_u32 v9, vcc_lo, s30, v9
	v_add_co_ci_u32_e32 v10, vcc_lo, s31, v10, vcc_lo
	global_load_b32 v31, v[9:10], off
	s_waitcnt vmcnt(0)
	v_fmac_f32_e32 v31, s26, v15
	global_store_b32 v[9:10], v31, off
	s_branch .LBB57_42
.LBB57_87:
	s_mov_b32 s0, exec_lo
	v_cmpx_eq_u32_e32 0xff, v0
	s_cbranch_execz .LBB57_89
; %bb.88:
	s_lshl_b64 s[0:1], s[24:25], 3
	v_dual_mov_b32 v0, 0 :: v_dual_mul_f32 v3, s26, v15
	s_waitcnt lgkmcnt(0)
	s_add_u32 s0, s12, s0
	s_addc_u32 s1, s13, s1
	s_lshl_b64 s[2:3], s[24:25], 2
	s_delay_alu instid0(SALU_CYCLE_1)
	s_add_u32 s2, s14, s2
	s_addc_u32 s3, s15, s3
	s_clause 0x1
	global_store_b64 v0, v[1:2], s[0:1] glc slc dlc
	global_store_b32 v0, v3, s[2:3] glc slc dlc
.LBB57_89:
	s_nop 0
	s_sendmsg sendmsg(MSG_DEALLOC_VGPRS)
	s_endpgm
	.section	.rodata,"a",@progbits
	.p2align	6, 0x0
	.amdhsa_kernel _ZN9rocsparseL26coomvn_aos_segmented_loopsILj256El18rocsparse_bfloat16S1_ffEEvlT0_NS_24const_host_device_scalarIT4_EEPKS2_PKT1_PKT2_PT3_PS2_PS4_21rocsparse_index_base_b
		.amdhsa_group_segment_fixed_size 3072
		.amdhsa_private_segment_fixed_size 0
		.amdhsa_kernarg_size 80
		.amdhsa_user_sgpr_count 15
		.amdhsa_user_sgpr_dispatch_ptr 0
		.amdhsa_user_sgpr_queue_ptr 0
		.amdhsa_user_sgpr_kernarg_segment_ptr 1
		.amdhsa_user_sgpr_dispatch_id 0
		.amdhsa_user_sgpr_private_segment_size 0
		.amdhsa_wavefront_size32 1
		.amdhsa_uses_dynamic_stack 0
		.amdhsa_enable_private_segment 0
		.amdhsa_system_sgpr_workgroup_id_x 1
		.amdhsa_system_sgpr_workgroup_id_y 0
		.amdhsa_system_sgpr_workgroup_id_z 0
		.amdhsa_system_sgpr_workgroup_info 0
		.amdhsa_system_vgpr_workitem_id 0
		.amdhsa_next_free_vgpr 35
		.amdhsa_next_free_sgpr 40
		.amdhsa_reserve_vcc 1
		.amdhsa_float_round_mode_32 0
		.amdhsa_float_round_mode_16_64 0
		.amdhsa_float_denorm_mode_32 3
		.amdhsa_float_denorm_mode_16_64 3
		.amdhsa_dx10_clamp 1
		.amdhsa_ieee_mode 1
		.amdhsa_fp16_overflow 0
		.amdhsa_workgroup_processor_mode 1
		.amdhsa_memory_ordered 1
		.amdhsa_forward_progress 0
		.amdhsa_shared_vgpr_count 0
		.amdhsa_exception_fp_ieee_invalid_op 0
		.amdhsa_exception_fp_denorm_src 0
		.amdhsa_exception_fp_ieee_div_zero 0
		.amdhsa_exception_fp_ieee_overflow 0
		.amdhsa_exception_fp_ieee_underflow 0
		.amdhsa_exception_fp_ieee_inexact 0
		.amdhsa_exception_int_div_zero 0
	.end_amdhsa_kernel
	.section	.text._ZN9rocsparseL26coomvn_aos_segmented_loopsILj256El18rocsparse_bfloat16S1_ffEEvlT0_NS_24const_host_device_scalarIT4_EEPKS2_PKT1_PKT2_PT3_PS2_PS4_21rocsparse_index_base_b,"axG",@progbits,_ZN9rocsparseL26coomvn_aos_segmented_loopsILj256El18rocsparse_bfloat16S1_ffEEvlT0_NS_24const_host_device_scalarIT4_EEPKS2_PKT1_PKT2_PT3_PS2_PS4_21rocsparse_index_base_b,comdat
.Lfunc_end57:
	.size	_ZN9rocsparseL26coomvn_aos_segmented_loopsILj256El18rocsparse_bfloat16S1_ffEEvlT0_NS_24const_host_device_scalarIT4_EEPKS2_PKT1_PKT2_PT3_PS2_PS4_21rocsparse_index_base_b, .Lfunc_end57-_ZN9rocsparseL26coomvn_aos_segmented_loopsILj256El18rocsparse_bfloat16S1_ffEEvlT0_NS_24const_host_device_scalarIT4_EEPKS2_PKT1_PKT2_PT3_PS2_PS4_21rocsparse_index_base_b
                                        ; -- End function
	.section	.AMDGPU.csdata,"",@progbits
; Kernel info:
; codeLenInByte = 3108
; NumSgprs: 42
; NumVgprs: 35
; ScratchSize: 0
; MemoryBound: 0
; FloatMode: 240
; IeeeMode: 1
; LDSByteSize: 3072 bytes/workgroup (compile time only)
; SGPRBlocks: 5
; VGPRBlocks: 4
; NumSGPRsForWavesPerEU: 42
; NumVGPRsForWavesPerEU: 35
; Occupancy: 16
; WaveLimiterHint : 1
; COMPUTE_PGM_RSRC2:SCRATCH_EN: 0
; COMPUTE_PGM_RSRC2:USER_SGPR: 15
; COMPUTE_PGM_RSRC2:TRAP_HANDLER: 0
; COMPUTE_PGM_RSRC2:TGID_X_EN: 1
; COMPUTE_PGM_RSRC2:TGID_Y_EN: 0
; COMPUTE_PGM_RSRC2:TGID_Z_EN: 0
; COMPUTE_PGM_RSRC2:TIDIG_COMP_CNT: 0
	.section	.text._ZN9rocsparseL23coomvn_aos_atomic_loopsILj256ELj1Eif21rocsparse_complex_numIfES2_S2_EEvlNS_24const_host_device_scalarIT5_EEPKT1_PKT2_PKT3_PT4_21rocsparse_index_base_b,"axG",@progbits,_ZN9rocsparseL23coomvn_aos_atomic_loopsILj256ELj1Eif21rocsparse_complex_numIfES2_S2_EEvlNS_24const_host_device_scalarIT5_EEPKT1_PKT2_PKT3_PT4_21rocsparse_index_base_b,comdat
	.globl	_ZN9rocsparseL23coomvn_aos_atomic_loopsILj256ELj1Eif21rocsparse_complex_numIfES2_S2_EEvlNS_24const_host_device_scalarIT5_EEPKT1_PKT2_PKT3_PT4_21rocsparse_index_base_b ; -- Begin function _ZN9rocsparseL23coomvn_aos_atomic_loopsILj256ELj1Eif21rocsparse_complex_numIfES2_S2_EEvlNS_24const_host_device_scalarIT5_EEPKT1_PKT2_PKT3_PT4_21rocsparse_index_base_b
	.p2align	8
	.type	_ZN9rocsparseL23coomvn_aos_atomic_loopsILj256ELj1Eif21rocsparse_complex_numIfES2_S2_EEvlNS_24const_host_device_scalarIT5_EEPKT1_PKT2_PKT3_PT4_21rocsparse_index_base_b,@function
_ZN9rocsparseL23coomvn_aos_atomic_loopsILj256ELj1Eif21rocsparse_complex_numIfES2_S2_EEvlNS_24const_host_device_scalarIT5_EEPKT1_PKT2_PKT3_PT4_21rocsparse_index_base_b: ; @_ZN9rocsparseL23coomvn_aos_atomic_loopsILj256ELj1Eif21rocsparse_complex_numIfES2_S2_EEvlNS_24const_host_device_scalarIT5_EEPKT1_PKT2_PKT3_PT4_21rocsparse_index_base_b
; %bb.0:
	s_clause 0x2
	s_load_b64 s[8:9], s[0:1], 0x30
	s_load_b64 s[2:3], s[0:1], 0x8
	s_load_b128 s[4:7], s[0:1], 0x0
	s_waitcnt lgkmcnt(0)
	s_bitcmp1_b32 s9, 0
	v_mov_b32_e32 v8, s2
	s_cselect_b32 s9, -1, 0
	s_delay_alu instid0(SALU_CYCLE_1)
	s_and_b32 vcc_lo, exec_lo, s9
	s_xor_b32 s2, s9, -1
	s_cbranch_vccnz .LBB58_2
; %bb.1:
	v_dual_mov_b32 v1, s6 :: v_dual_mov_b32 v2, s7
	flat_load_b32 v8, v[1:2]
.LBB58_2:
	v_mov_b32_e32 v9, s3
	s_and_not1_b32 vcc_lo, exec_lo, s2
	s_cbranch_vccnz .LBB58_4
; %bb.3:
	v_dual_mov_b32 v1, s6 :: v_dual_mov_b32 v2, s7
	flat_load_b32 v9, v[1:2] offset:4
.LBB58_4:
	s_waitcnt vmcnt(0) lgkmcnt(0)
	v_cmp_neq_f32_e32 vcc_lo, 0, v8
	v_cmp_neq_f32_e64 s2, 0, v9
	s_delay_alu instid0(VALU_DEP_1) | instskip(NEXT) | instid1(SALU_CYCLE_1)
	s_or_b32 s2, vcc_lo, s2
	s_and_saveexec_b32 s3, s2
	s_cbranch_execz .LBB58_50
; %bb.5:
	v_mov_b32_e32 v5, 0
	v_lshl_or_b32 v4, s15, 8, v0
	v_mov_b32_e32 v3, -1
	s_mov_b32 s2, exec_lo
	s_delay_alu instid0(VALU_DEP_3)
	v_mov_b32_e32 v2, v5
	v_mov_b32_e32 v1, v5
	v_cmpx_gt_i64_e64 s[4:5], v[4:5]
	s_cbranch_execz .LBB58_7
; %bb.6:
	s_clause 0x1
	s_load_b128 s[4:7], s[0:1], 0x10
	s_load_b64 s[10:11], s[0:1], 0x20
	v_lshlrev_b64 v[1:2], 3, v[4:5]
	v_lshlrev_b64 v[3:4], 2, v[4:5]
	s_waitcnt lgkmcnt(0)
	s_delay_alu instid0(VALU_DEP_2) | instskip(NEXT) | instid1(VALU_DEP_3)
	v_add_co_u32 v1, vcc_lo, s4, v1
	v_add_co_ci_u32_e32 v2, vcc_lo, s5, v2, vcc_lo
	global_load_b64 v[6:7], v[1:2], off slc dlc
	s_waitcnt vmcnt(0)
	v_subrev_nc_u32_e32 v1, s8, v7
	s_delay_alu instid0(VALU_DEP_1) | instskip(NEXT) | instid1(VALU_DEP_1)
	v_ashrrev_i32_e32 v2, 31, v1
	v_lshlrev_b64 v[1:2], 3, v[1:2]
	s_delay_alu instid0(VALU_DEP_1) | instskip(NEXT) | instid1(VALU_DEP_2)
	v_add_co_u32 v1, vcc_lo, s10, v1
	v_add_co_ci_u32_e32 v2, vcc_lo, s11, v2, vcc_lo
	v_add_co_u32 v3, vcc_lo, s6, v3
	v_add_co_ci_u32_e32 v4, vcc_lo, s7, v4, vcc_lo
	global_load_b64 v[10:11], v[1:2], off
	global_load_b32 v4, v[3:4], off slc dlc
	v_subrev_nc_u32_e32 v3, s8, v6
	s_waitcnt vmcnt(0)
	v_mul_f32_e32 v2, v4, v11
	s_delay_alu instid0(VALU_DEP_1) | instskip(NEXT) | instid1(VALU_DEP_1)
	v_dual_mul_f32 v1, 0x80000000, v11 :: v_dual_fmac_f32 v2, 0, v10
	v_fmac_f32_e32 v1, v4, v10
.LBB58_7:
	s_or_b32 exec_lo, exec_lo, s2
	v_lshlrev_b32_e32 v6, 2, v0
	v_lshlrev_b32_e32 v5, 3, v0
	s_mov_b32 s2, exec_lo
	ds_store_b32 v6, v3 offset:2048
	ds_store_b64 v5, v[1:2]
	v_or_b32_e32 v4, 0x800, v6
	s_waitcnt lgkmcnt(0)
	s_barrier
	buffer_gl0_inv
	v_cmpx_ne_u32_e32 0, v0
	s_cbranch_execz .LBB58_11
; %bb.8:
	v_add_nc_u32_e32 v6, -4, v4
	s_mov_b32 s3, exec_lo
	ds_load_b32 v6, v6
	s_waitcnt lgkmcnt(0)
	v_cmpx_eq_u32_e64 v3, v6
	s_cbranch_execz .LBB58_10
; %bb.9:
	v_add_nc_u32_e32 v6, -8, v5
	ds_load_b64 v[6:7], v6
	s_waitcnt lgkmcnt(0)
	v_dual_add_f32 v1, v1, v6 :: v_dual_add_f32 v2, v2, v7
.LBB58_10:
	s_or_b32 exec_lo, exec_lo, s3
.LBB58_11:
	s_delay_alu instid0(SALU_CYCLE_1) | instskip(NEXT) | instid1(SALU_CYCLE_1)
	s_or_b32 exec_lo, exec_lo, s2
	s_mov_b32 s2, exec_lo
	s_barrier
	buffer_gl0_inv
	ds_store_b64 v5, v[1:2]
	s_waitcnt lgkmcnt(0)
	s_barrier
	buffer_gl0_inv
	v_cmpx_lt_u32_e32 1, v0
	s_cbranch_execz .LBB58_15
; %bb.12:
	v_add_nc_u32_e32 v6, -8, v4
	s_mov_b32 s3, exec_lo
	ds_load_b32 v6, v6
	s_waitcnt lgkmcnt(0)
	v_cmpx_eq_u32_e64 v3, v6
	s_cbranch_execz .LBB58_14
; %bb.13:
	v_add_nc_u32_e32 v6, -16, v5
	ds_load_b64 v[6:7], v6
	s_waitcnt lgkmcnt(0)
	v_dual_add_f32 v1, v1, v6 :: v_dual_add_f32 v2, v2, v7
.LBB58_14:
	s_or_b32 exec_lo, exec_lo, s3
.LBB58_15:
	s_delay_alu instid0(SALU_CYCLE_1) | instskip(NEXT) | instid1(SALU_CYCLE_1)
	s_or_b32 exec_lo, exec_lo, s2
	s_mov_b32 s2, exec_lo
	s_barrier
	buffer_gl0_inv
	ds_store_b64 v5, v[1:2]
	s_waitcnt lgkmcnt(0)
	s_barrier
	buffer_gl0_inv
	v_cmpx_lt_u32_e32 3, v0
	s_cbranch_execz .LBB58_19
; %bb.16:
	v_add_nc_u32_e32 v6, -16, v4
	s_mov_b32 s3, exec_lo
	ds_load_b32 v6, v6
	s_waitcnt lgkmcnt(0)
	v_cmpx_eq_u32_e64 v3, v6
	s_cbranch_execz .LBB58_18
; %bb.17:
	v_subrev_nc_u32_e32 v6, 32, v5
	ds_load_b64 v[6:7], v6
	s_waitcnt lgkmcnt(0)
	v_dual_add_f32 v1, v1, v6 :: v_dual_add_f32 v2, v2, v7
.LBB58_18:
	s_or_b32 exec_lo, exec_lo, s3
.LBB58_19:
	s_delay_alu instid0(SALU_CYCLE_1) | instskip(NEXT) | instid1(SALU_CYCLE_1)
	s_or_b32 exec_lo, exec_lo, s2
	s_mov_b32 s2, exec_lo
	s_barrier
	buffer_gl0_inv
	ds_store_b64 v5, v[1:2]
	s_waitcnt lgkmcnt(0)
	s_barrier
	buffer_gl0_inv
	v_cmpx_lt_u32_e32 7, v0
	s_cbranch_execz .LBB58_23
; %bb.20:
	v_subrev_nc_u32_e32 v6, 32, v4
	s_mov_b32 s3, exec_lo
	ds_load_b32 v6, v6
	s_waitcnt lgkmcnt(0)
	v_cmpx_eq_u32_e64 v3, v6
	s_cbranch_execz .LBB58_22
; %bb.21:
	v_subrev_nc_u32_e32 v6, 64, v5
	ds_load_b64 v[6:7], v6
	s_waitcnt lgkmcnt(0)
	v_dual_add_f32 v1, v1, v6 :: v_dual_add_f32 v2, v2, v7
.LBB58_22:
	s_or_b32 exec_lo, exec_lo, s3
.LBB58_23:
	s_delay_alu instid0(SALU_CYCLE_1) | instskip(NEXT) | instid1(SALU_CYCLE_1)
	s_or_b32 exec_lo, exec_lo, s2
	s_mov_b32 s2, exec_lo
	s_barrier
	buffer_gl0_inv
	ds_store_b64 v5, v[1:2]
	s_waitcnt lgkmcnt(0)
	s_barrier
	buffer_gl0_inv
	v_cmpx_lt_u32_e32 15, v0
	s_cbranch_execz .LBB58_27
; %bb.24:
	v_subrev_nc_u32_e32 v6, 64, v4
	s_mov_b32 s3, exec_lo
	ds_load_b32 v6, v6
	s_waitcnt lgkmcnt(0)
	v_cmpx_eq_u32_e64 v3, v6
	s_cbranch_execz .LBB58_26
; %bb.25:
	v_add_nc_u32_e32 v6, 0xffffff80, v5
	ds_load_b64 v[6:7], v6
	s_waitcnt lgkmcnt(0)
	v_dual_add_f32 v1, v1, v6 :: v_dual_add_f32 v2, v2, v7
.LBB58_26:
	s_or_b32 exec_lo, exec_lo, s3
.LBB58_27:
	s_delay_alu instid0(SALU_CYCLE_1) | instskip(NEXT) | instid1(SALU_CYCLE_1)
	s_or_b32 exec_lo, exec_lo, s2
	s_mov_b32 s2, exec_lo
	s_barrier
	buffer_gl0_inv
	ds_store_b64 v5, v[1:2]
	s_waitcnt lgkmcnt(0)
	s_barrier
	buffer_gl0_inv
	v_cmpx_lt_u32_e32 31, v0
	s_cbranch_execz .LBB58_31
; %bb.28:
	v_add_nc_u32_e32 v6, 0xffffff80, v4
	s_mov_b32 s3, exec_lo
	ds_load_b32 v6, v6
	s_waitcnt lgkmcnt(0)
	v_cmpx_eq_u32_e64 v3, v6
	s_cbranch_execz .LBB58_30
; %bb.29:
	v_add_nc_u32_e32 v6, 0xffffff00, v5
	ds_load_b64 v[6:7], v6
	s_waitcnt lgkmcnt(0)
	v_dual_add_f32 v1, v1, v6 :: v_dual_add_f32 v2, v2, v7
.LBB58_30:
	s_or_b32 exec_lo, exec_lo, s3
.LBB58_31:
	s_delay_alu instid0(SALU_CYCLE_1) | instskip(NEXT) | instid1(SALU_CYCLE_1)
	s_or_b32 exec_lo, exec_lo, s2
	s_mov_b32 s2, exec_lo
	s_barrier
	buffer_gl0_inv
	ds_store_b64 v5, v[1:2]
	s_waitcnt lgkmcnt(0)
	s_barrier
	buffer_gl0_inv
	v_cmpx_lt_u32_e32 63, v0
	s_cbranch_execz .LBB58_35
; %bb.32:
	v_add_nc_u32_e32 v6, 0xffffff00, v4
	s_mov_b32 s3, exec_lo
	ds_load_b32 v6, v6
	s_waitcnt lgkmcnt(0)
	v_cmpx_eq_u32_e64 v3, v6
	s_cbranch_execz .LBB58_34
; %bb.33:
	v_add_nc_u32_e32 v6, 0xfffffe00, v5
	ds_load_b64 v[6:7], v6
	s_waitcnt lgkmcnt(0)
	v_dual_add_f32 v1, v1, v6 :: v_dual_add_f32 v2, v2, v7
.LBB58_34:
	s_or_b32 exec_lo, exec_lo, s3
.LBB58_35:
	s_delay_alu instid0(SALU_CYCLE_1)
	s_or_b32 exec_lo, exec_lo, s2
	s_load_b64 s[2:3], s[0:1], 0x28
	s_mov_b32 s0, exec_lo
	s_waitcnt lgkmcnt(0)
	s_barrier
	buffer_gl0_inv
	ds_store_b64 v5, v[1:2]
	s_waitcnt lgkmcnt(0)
	s_barrier
	buffer_gl0_inv
	v_cmpx_lt_u32_e32 0x7f, v0
	s_cbranch_execz .LBB58_39
; %bb.36:
	v_add_nc_u32_e32 v6, 0xfffffe00, v4
	s_mov_b32 s1, exec_lo
	ds_load_b32 v6, v6
	s_waitcnt lgkmcnt(0)
	v_cmpx_eq_u32_e64 v3, v6
	s_cbranch_execz .LBB58_38
; %bb.37:
	v_add_nc_u32_e32 v6, 0xfffffc00, v5
	ds_load_b64 v[6:7], v6
	s_waitcnt lgkmcnt(0)
	v_dual_add_f32 v1, v1, v6 :: v_dual_add_f32 v2, v2, v7
.LBB58_38:
	s_or_b32 exec_lo, exec_lo, s1
.LBB58_39:
	s_delay_alu instid0(SALU_CYCLE_1) | instskip(NEXT) | instid1(SALU_CYCLE_1)
	s_or_b32 exec_lo, exec_lo, s0
	s_mov_b32 s1, exec_lo
	s_barrier
	buffer_gl0_inv
	ds_store_b64 v5, v[1:2]
	s_waitcnt lgkmcnt(0)
	s_barrier
	buffer_gl0_inv
	v_cmpx_gt_u32_e32 0xff, v0
	s_cbranch_execz .LBB58_45
; %bb.40:
	ds_load_b32 v4, v4 offset:4
	v_cmp_lt_i32_e64 s0, -1, v3
	s_waitcnt lgkmcnt(0)
	v_cmp_ne_u32_e32 vcc_lo, v3, v4
	s_delay_alu instid0(VALU_DEP_2) | instskip(NEXT) | instid1(SALU_CYCLE_1)
	s_and_b32 s0, s0, vcc_lo
	s_and_b32 exec_lo, exec_lo, s0
	s_cbranch_execz .LBB58_45
; %bb.41:
	v_mov_b32_e32 v4, 0
	v_mul_f32_e64 v10, v2, -v9
	s_mov_b32 s0, 0
	s_delay_alu instid0(VALU_DEP_2) | instskip(NEXT) | instid1(VALU_DEP_2)
	v_lshlrev_b64 v[4:5], 3, v[3:4]
	v_fmac_f32_e32 v10, v8, v1
	s_delay_alu instid0(VALU_DEP_2) | instskip(NEXT) | instid1(VALU_DEP_3)
	v_add_co_u32 v4, vcc_lo, s2, v4
	v_add_co_ci_u32_e32 v5, vcc_lo, s3, v5, vcc_lo
	global_load_b32 v7, v[4:5], off
.LBB58_42:                              ; =>This Inner Loop Header: Depth=1
	s_waitcnt vmcnt(0)
	v_add_f32_e32 v6, v7, v10
	global_atomic_cmpswap_b32 v6, v[4:5], v[6:7], off glc
	s_waitcnt vmcnt(0)
	v_cmp_eq_u32_e32 vcc_lo, v6, v7
	v_mov_b32_e32 v7, v6
	s_or_b32 s0, vcc_lo, s0
	s_delay_alu instid0(SALU_CYCLE_1)
	s_and_not1_b32 exec_lo, exec_lo, s0
	s_cbranch_execnz .LBB58_42
; %bb.43:
	s_or_b32 exec_lo, exec_lo, s0
	global_load_b32 v7, v[4:5], off offset:4
	v_mul_f32_e32 v10, v8, v2
	s_mov_b32 s0, 0
	s_delay_alu instid0(VALU_DEP_1)
	v_fmac_f32_e32 v10, v9, v1
.LBB58_44:                              ; =>This Inner Loop Header: Depth=1
	s_waitcnt vmcnt(0)
	s_delay_alu instid0(VALU_DEP_1)
	v_add_f32_e32 v6, v7, v10
	global_atomic_cmpswap_b32 v6, v[4:5], v[6:7], off offset:4 glc
	s_waitcnt vmcnt(0)
	v_cmp_eq_u32_e32 vcc_lo, v6, v7
	v_mov_b32_e32 v7, v6
	s_or_b32 s0, vcc_lo, s0
	s_delay_alu instid0(SALU_CYCLE_1)
	s_and_not1_b32 exec_lo, exec_lo, s0
	s_cbranch_execnz .LBB58_44
.LBB58_45:
	s_or_b32 exec_lo, exec_lo, s1
	v_cmp_eq_u32_e32 vcc_lo, 0xff, v0
	v_cmp_lt_i32_e64 s0, -1, v3
	s_delay_alu instid0(VALU_DEP_1) | instskip(NEXT) | instid1(SALU_CYCLE_1)
	s_and_b32 s0, vcc_lo, s0
	s_and_b32 exec_lo, exec_lo, s0
	s_cbranch_execz .LBB58_50
; %bb.46:
	v_mov_b32_e32 v4, 0
	v_mul_f32_e64 v0, v2, -v9
	s_mov_b32 s0, 0
	s_delay_alu instid0(VALU_DEP_2) | instskip(NEXT) | instid1(VALU_DEP_2)
	v_lshlrev_b64 v[3:4], 3, v[3:4]
	v_fmac_f32_e32 v0, v8, v1
	s_delay_alu instid0(VALU_DEP_2) | instskip(NEXT) | instid1(VALU_DEP_3)
	v_add_co_u32 v3, vcc_lo, s2, v3
	v_add_co_ci_u32_e32 v4, vcc_lo, s3, v4, vcc_lo
	global_load_b32 v6, v[3:4], off
.LBB58_47:                              ; =>This Inner Loop Header: Depth=1
	s_waitcnt vmcnt(0)
	v_add_f32_e32 v5, v6, v0
	global_atomic_cmpswap_b32 v5, v[3:4], v[5:6], off glc
	s_waitcnt vmcnt(0)
	v_cmp_eq_u32_e32 vcc_lo, v5, v6
	v_mov_b32_e32 v6, v5
	s_or_b32 s0, vcc_lo, s0
	s_delay_alu instid0(SALU_CYCLE_1)
	s_and_not1_b32 exec_lo, exec_lo, s0
	s_cbranch_execnz .LBB58_47
; %bb.48:
	s_or_b32 exec_lo, exec_lo, s0
	global_load_b32 v6, v[3:4], off offset:4
	v_mul_f32_e32 v0, v8, v2
	s_mov_b32 s0, 0
	s_delay_alu instid0(VALU_DEP_1)
	v_fmac_f32_e32 v0, v9, v1
.LBB58_49:                              ; =>This Inner Loop Header: Depth=1
	s_waitcnt vmcnt(0)
	s_delay_alu instid0(VALU_DEP_1)
	v_add_f32_e32 v5, v6, v0
	global_atomic_cmpswap_b32 v1, v[3:4], v[5:6], off offset:4 glc
	s_waitcnt vmcnt(0)
	v_cmp_eq_u32_e32 vcc_lo, v1, v6
	v_mov_b32_e32 v6, v1
	s_or_b32 s0, vcc_lo, s0
	s_delay_alu instid0(SALU_CYCLE_1)
	s_and_not1_b32 exec_lo, exec_lo, s0
	s_cbranch_execnz .LBB58_49
.LBB58_50:
	s_endpgm
	.section	.rodata,"a",@progbits
	.p2align	6, 0x0
	.amdhsa_kernel _ZN9rocsparseL23coomvn_aos_atomic_loopsILj256ELj1Eif21rocsparse_complex_numIfES2_S2_EEvlNS_24const_host_device_scalarIT5_EEPKT1_PKT2_PKT3_PT4_21rocsparse_index_base_b
		.amdhsa_group_segment_fixed_size 3072
		.amdhsa_private_segment_fixed_size 0
		.amdhsa_kernarg_size 56
		.amdhsa_user_sgpr_count 15
		.amdhsa_user_sgpr_dispatch_ptr 0
		.amdhsa_user_sgpr_queue_ptr 0
		.amdhsa_user_sgpr_kernarg_segment_ptr 1
		.amdhsa_user_sgpr_dispatch_id 0
		.amdhsa_user_sgpr_private_segment_size 0
		.amdhsa_wavefront_size32 1
		.amdhsa_uses_dynamic_stack 0
		.amdhsa_enable_private_segment 0
		.amdhsa_system_sgpr_workgroup_id_x 1
		.amdhsa_system_sgpr_workgroup_id_y 0
		.amdhsa_system_sgpr_workgroup_id_z 0
		.amdhsa_system_sgpr_workgroup_info 0
		.amdhsa_system_vgpr_workitem_id 0
		.amdhsa_next_free_vgpr 12
		.amdhsa_next_free_sgpr 16
		.amdhsa_reserve_vcc 1
		.amdhsa_float_round_mode_32 0
		.amdhsa_float_round_mode_16_64 0
		.amdhsa_float_denorm_mode_32 3
		.amdhsa_float_denorm_mode_16_64 3
		.amdhsa_dx10_clamp 1
		.amdhsa_ieee_mode 1
		.amdhsa_fp16_overflow 0
		.amdhsa_workgroup_processor_mode 1
		.amdhsa_memory_ordered 1
		.amdhsa_forward_progress 0
		.amdhsa_shared_vgpr_count 0
		.amdhsa_exception_fp_ieee_invalid_op 0
		.amdhsa_exception_fp_denorm_src 0
		.amdhsa_exception_fp_ieee_div_zero 0
		.amdhsa_exception_fp_ieee_overflow 0
		.amdhsa_exception_fp_ieee_underflow 0
		.amdhsa_exception_fp_ieee_inexact 0
		.amdhsa_exception_int_div_zero 0
	.end_amdhsa_kernel
	.section	.text._ZN9rocsparseL23coomvn_aos_atomic_loopsILj256ELj1Eif21rocsparse_complex_numIfES2_S2_EEvlNS_24const_host_device_scalarIT5_EEPKT1_PKT2_PKT3_PT4_21rocsparse_index_base_b,"axG",@progbits,_ZN9rocsparseL23coomvn_aos_atomic_loopsILj256ELj1Eif21rocsparse_complex_numIfES2_S2_EEvlNS_24const_host_device_scalarIT5_EEPKT1_PKT2_PKT3_PT4_21rocsparse_index_base_b,comdat
.Lfunc_end58:
	.size	_ZN9rocsparseL23coomvn_aos_atomic_loopsILj256ELj1Eif21rocsparse_complex_numIfES2_S2_EEvlNS_24const_host_device_scalarIT5_EEPKT1_PKT2_PKT3_PT4_21rocsparse_index_base_b, .Lfunc_end58-_ZN9rocsparseL23coomvn_aos_atomic_loopsILj256ELj1Eif21rocsparse_complex_numIfES2_S2_EEvlNS_24const_host_device_scalarIT5_EEPKT1_PKT2_PKT3_PT4_21rocsparse_index_base_b
                                        ; -- End function
	.section	.AMDGPU.csdata,"",@progbits
; Kernel info:
; codeLenInByte = 1816
; NumSgprs: 18
; NumVgprs: 12
; ScratchSize: 0
; MemoryBound: 0
; FloatMode: 240
; IeeeMode: 1
; LDSByteSize: 3072 bytes/workgroup (compile time only)
; SGPRBlocks: 2
; VGPRBlocks: 1
; NumSGPRsForWavesPerEU: 18
; NumVGPRsForWavesPerEU: 12
; Occupancy: 16
; WaveLimiterHint : 1
; COMPUTE_PGM_RSRC2:SCRATCH_EN: 0
; COMPUTE_PGM_RSRC2:USER_SGPR: 15
; COMPUTE_PGM_RSRC2:TRAP_HANDLER: 0
; COMPUTE_PGM_RSRC2:TGID_X_EN: 1
; COMPUTE_PGM_RSRC2:TGID_Y_EN: 0
; COMPUTE_PGM_RSRC2:TGID_Z_EN: 0
; COMPUTE_PGM_RSRC2:TIDIG_COMP_CNT: 0
	.section	.text._ZN9rocsparseL17coomvt_aos_kernelILj1024Eif21rocsparse_complex_numIfES2_S2_EEv20rocsparse_operation_lNS_24const_host_device_scalarIT4_EEPKT0_PKT1_PKT2_PT3_21rocsparse_index_base_b,"axG",@progbits,_ZN9rocsparseL17coomvt_aos_kernelILj1024Eif21rocsparse_complex_numIfES2_S2_EEv20rocsparse_operation_lNS_24const_host_device_scalarIT4_EEPKT0_PKT1_PKT2_PT3_21rocsparse_index_base_b,comdat
	.globl	_ZN9rocsparseL17coomvt_aos_kernelILj1024Eif21rocsparse_complex_numIfES2_S2_EEv20rocsparse_operation_lNS_24const_host_device_scalarIT4_EEPKT0_PKT1_PKT2_PT3_21rocsparse_index_base_b ; -- Begin function _ZN9rocsparseL17coomvt_aos_kernelILj1024Eif21rocsparse_complex_numIfES2_S2_EEv20rocsparse_operation_lNS_24const_host_device_scalarIT4_EEPKT0_PKT1_PKT2_PT3_21rocsparse_index_base_b
	.p2align	8
	.type	_ZN9rocsparseL17coomvt_aos_kernelILj1024Eif21rocsparse_complex_numIfES2_S2_EEv20rocsparse_operation_lNS_24const_host_device_scalarIT4_EEPKT0_PKT1_PKT2_PT3_21rocsparse_index_base_b,@function
_ZN9rocsparseL17coomvt_aos_kernelILj1024Eif21rocsparse_complex_numIfES2_S2_EEv20rocsparse_operation_lNS_24const_host_device_scalarIT4_EEPKT0_PKT1_PKT2_PT3_21rocsparse_index_base_b: ; @_ZN9rocsparseL17coomvt_aos_kernelILj1024Eif21rocsparse_complex_numIfES2_S2_EEv20rocsparse_operation_lNS_24const_host_device_scalarIT4_EEPKT0_PKT1_PKT2_PT3_21rocsparse_index_base_b
; %bb.0:
	s_clause 0x2
	s_load_b64 s[8:9], s[0:1], 0x38
	s_load_b64 s[2:3], s[0:1], 0x10
	s_load_b128 s[4:7], s[0:1], 0x8
	s_waitcnt lgkmcnt(0)
	s_bitcmp1_b32 s9, 0
	v_mov_b32_e32 v4, s2
	s_cselect_b32 s9, -1, 0
	s_delay_alu instid0(SALU_CYCLE_1)
	s_and_b32 vcc_lo, exec_lo, s9
	s_xor_b32 s2, s9, -1
	s_cbranch_vccnz .LBB59_2
; %bb.1:
	v_dual_mov_b32 v1, s6 :: v_dual_mov_b32 v2, s7
	flat_load_b32 v4, v[1:2]
.LBB59_2:
	v_mov_b32_e32 v6, s3
	s_and_not1_b32 vcc_lo, exec_lo, s2
	s_cbranch_vccnz .LBB59_4
; %bb.3:
	v_dual_mov_b32 v1, s6 :: v_dual_mov_b32 v2, s7
	flat_load_b32 v6, v[1:2] offset:4
.LBB59_4:
	s_waitcnt vmcnt(0) lgkmcnt(0)
	v_cmp_neq_f32_e32 vcc_lo, 0, v4
	v_cmp_neq_f32_e64 s2, 0, v6
	s_delay_alu instid0(VALU_DEP_1) | instskip(NEXT) | instid1(SALU_CYCLE_1)
	s_or_b32 s2, vcc_lo, s2
	s_and_saveexec_b32 s3, s2
	s_cbranch_execz .LBB59_10
; %bb.5:
	s_load_b32 s2, s[0:1], 0x4c
	s_waitcnt lgkmcnt(0)
	s_and_b32 s2, s2, 0xffff
	s_delay_alu instid0(SALU_CYCLE_1) | instskip(SKIP_1) | instid1(VALU_DEP_1)
	v_mad_u64_u32 v[1:2], null, s15, s2, v[0:1]
	v_mov_b32_e32 v2, 0
	v_cmp_gt_i64_e32 vcc_lo, s[4:5], v[1:2]
	s_and_b32 exec_lo, exec_lo, vcc_lo
	s_cbranch_execz .LBB59_10
; %bb.6:
	s_load_b256 s[0:7], s[0:1], 0x18
	v_lshlrev_b64 v[7:8], 3, v[1:2]
	v_lshlrev_b64 v[2:3], 2, v[1:2]
	s_waitcnt lgkmcnt(0)
	s_delay_alu instid0(VALU_DEP_2) | instskip(NEXT) | instid1(VALU_DEP_3)
	v_add_co_u32 v7, vcc_lo, s0, v7
	v_add_co_ci_u32_e32 v8, vcc_lo, s1, v8, vcc_lo
	s_delay_alu instid0(VALU_DEP_3) | instskip(NEXT) | instid1(VALU_DEP_4)
	v_add_co_u32 v2, vcc_lo, s2, v2
	v_add_co_ci_u32_e32 v3, vcc_lo, s3, v3, vcc_lo
	global_load_b64 v[7:8], v[7:8], off
	s_mov_b32 s0, 0
	global_load_b32 v9, v[2:3], off
	s_waitcnt vmcnt(1)
	v_subrev_nc_u32_e32 v0, s8, v7
	v_subrev_nc_u32_e32 v7, s8, v8
	s_delay_alu instid0(VALU_DEP_2) | instskip(NEXT) | instid1(VALU_DEP_2)
	v_ashrrev_i32_e32 v1, 31, v0
	v_ashrrev_i32_e32 v8, 31, v7
	s_delay_alu instid0(VALU_DEP_2) | instskip(NEXT) | instid1(VALU_DEP_2)
	v_lshlrev_b64 v[0:1], 3, v[0:1]
	v_lshlrev_b64 v[7:8], 3, v[7:8]
	s_delay_alu instid0(VALU_DEP_2) | instskip(NEXT) | instid1(VALU_DEP_3)
	v_add_co_u32 v0, vcc_lo, s4, v0
	v_add_co_ci_u32_e32 v1, vcc_lo, s5, v1, vcc_lo
	global_load_b64 v[2:3], v[0:1], off
	v_add_co_u32 v0, vcc_lo, s6, v7
	v_add_co_ci_u32_e32 v1, vcc_lo, s7, v8, vcc_lo
	v_dual_mul_f32 v7, 0, v4 :: v_dual_mul_f32 v8, 0x80000000, v6
	global_load_b32 v5, v[0:1], off
	s_waitcnt vmcnt(2)
	v_fmac_f32_e32 v8, v4, v9
	v_fmac_f32_e32 v7, v6, v9
	s_waitcnt vmcnt(1)
	s_delay_alu instid0(VALU_DEP_1) | instskip(NEXT) | instid1(VALU_DEP_1)
	v_mul_f32_e64 v6, v3, -v7
	v_fmac_f32_e32 v6, v8, v2
.LBB59_7:                               ; =>This Inner Loop Header: Depth=1
	s_waitcnt vmcnt(0)
	s_delay_alu instid0(VALU_DEP_1)
	v_add_f32_e32 v4, v5, v6
	global_atomic_cmpswap_b32 v4, v[0:1], v[4:5], off glc
	s_waitcnt vmcnt(0)
	v_cmp_eq_u32_e32 vcc_lo, v4, v5
	v_mov_b32_e32 v5, v4
	s_or_b32 s0, vcc_lo, s0
	s_delay_alu instid0(SALU_CYCLE_1)
	s_and_not1_b32 exec_lo, exec_lo, s0
	s_cbranch_execnz .LBB59_7
; %bb.8:
	s_or_b32 exec_lo, exec_lo, s0
	global_load_b32 v4, v[0:1], off offset:4
	v_mul_f32_e32 v5, v8, v3
	s_mov_b32 s0, 0
	s_delay_alu instid0(VALU_DEP_1)
	v_fmac_f32_e32 v5, v7, v2
.LBB59_9:                               ; =>This Inner Loop Header: Depth=1
	s_waitcnt vmcnt(0)
	s_delay_alu instid0(VALU_DEP_1)
	v_add_f32_e32 v3, v4, v5
	global_atomic_cmpswap_b32 v2, v[0:1], v[3:4], off offset:4 glc
	s_waitcnt vmcnt(0)
	v_cmp_eq_u32_e32 vcc_lo, v2, v4
	v_mov_b32_e32 v4, v2
	s_or_b32 s0, vcc_lo, s0
	s_delay_alu instid0(SALU_CYCLE_1)
	s_and_not1_b32 exec_lo, exec_lo, s0
	s_cbranch_execnz .LBB59_9
.LBB59_10:
	s_endpgm
	.section	.rodata,"a",@progbits
	.p2align	6, 0x0
	.amdhsa_kernel _ZN9rocsparseL17coomvt_aos_kernelILj1024Eif21rocsparse_complex_numIfES2_S2_EEv20rocsparse_operation_lNS_24const_host_device_scalarIT4_EEPKT0_PKT1_PKT2_PT3_21rocsparse_index_base_b
		.amdhsa_group_segment_fixed_size 0
		.amdhsa_private_segment_fixed_size 0
		.amdhsa_kernarg_size 320
		.amdhsa_user_sgpr_count 15
		.amdhsa_user_sgpr_dispatch_ptr 0
		.amdhsa_user_sgpr_queue_ptr 0
		.amdhsa_user_sgpr_kernarg_segment_ptr 1
		.amdhsa_user_sgpr_dispatch_id 0
		.amdhsa_user_sgpr_private_segment_size 0
		.amdhsa_wavefront_size32 1
		.amdhsa_uses_dynamic_stack 0
		.amdhsa_enable_private_segment 0
		.amdhsa_system_sgpr_workgroup_id_x 1
		.amdhsa_system_sgpr_workgroup_id_y 0
		.amdhsa_system_sgpr_workgroup_id_z 0
		.amdhsa_system_sgpr_workgroup_info 0
		.amdhsa_system_vgpr_workitem_id 0
		.amdhsa_next_free_vgpr 10
		.amdhsa_next_free_sgpr 16
		.amdhsa_reserve_vcc 1
		.amdhsa_float_round_mode_32 0
		.amdhsa_float_round_mode_16_64 0
		.amdhsa_float_denorm_mode_32 3
		.amdhsa_float_denorm_mode_16_64 3
		.amdhsa_dx10_clamp 1
		.amdhsa_ieee_mode 1
		.amdhsa_fp16_overflow 0
		.amdhsa_workgroup_processor_mode 1
		.amdhsa_memory_ordered 1
		.amdhsa_forward_progress 0
		.amdhsa_shared_vgpr_count 0
		.amdhsa_exception_fp_ieee_invalid_op 0
		.amdhsa_exception_fp_denorm_src 0
		.amdhsa_exception_fp_ieee_div_zero 0
		.amdhsa_exception_fp_ieee_overflow 0
		.amdhsa_exception_fp_ieee_underflow 0
		.amdhsa_exception_fp_ieee_inexact 0
		.amdhsa_exception_int_div_zero 0
	.end_amdhsa_kernel
	.section	.text._ZN9rocsparseL17coomvt_aos_kernelILj1024Eif21rocsparse_complex_numIfES2_S2_EEv20rocsparse_operation_lNS_24const_host_device_scalarIT4_EEPKT0_PKT1_PKT2_PT3_21rocsparse_index_base_b,"axG",@progbits,_ZN9rocsparseL17coomvt_aos_kernelILj1024Eif21rocsparse_complex_numIfES2_S2_EEv20rocsparse_operation_lNS_24const_host_device_scalarIT4_EEPKT0_PKT1_PKT2_PT3_21rocsparse_index_base_b,comdat
.Lfunc_end59:
	.size	_ZN9rocsparseL17coomvt_aos_kernelILj1024Eif21rocsparse_complex_numIfES2_S2_EEv20rocsparse_operation_lNS_24const_host_device_scalarIT4_EEPKT0_PKT1_PKT2_PT3_21rocsparse_index_base_b, .Lfunc_end59-_ZN9rocsparseL17coomvt_aos_kernelILj1024Eif21rocsparse_complex_numIfES2_S2_EEv20rocsparse_operation_lNS_24const_host_device_scalarIT4_EEPKT0_PKT1_PKT2_PT3_21rocsparse_index_base_b
                                        ; -- End function
	.section	.AMDGPU.csdata,"",@progbits
; Kernel info:
; codeLenInByte = 524
; NumSgprs: 18
; NumVgprs: 10
; ScratchSize: 0
; MemoryBound: 0
; FloatMode: 240
; IeeeMode: 1
; LDSByteSize: 0 bytes/workgroup (compile time only)
; SGPRBlocks: 2
; VGPRBlocks: 1
; NumSGPRsForWavesPerEU: 18
; NumVGPRsForWavesPerEU: 10
; Occupancy: 16
; WaveLimiterHint : 1
; COMPUTE_PGM_RSRC2:SCRATCH_EN: 0
; COMPUTE_PGM_RSRC2:USER_SGPR: 15
; COMPUTE_PGM_RSRC2:TRAP_HANDLER: 0
; COMPUTE_PGM_RSRC2:TGID_X_EN: 1
; COMPUTE_PGM_RSRC2:TGID_Y_EN: 0
; COMPUTE_PGM_RSRC2:TGID_Z_EN: 0
; COMPUTE_PGM_RSRC2:TIDIG_COMP_CNT: 0
	.section	.text._ZN9rocsparseL26coomvn_aos_segmented_loopsILj256Eif21rocsparse_complex_numIfES2_S2_EEvlT0_NS_24const_host_device_scalarIT4_EEPKS3_PKT1_PKT2_PT3_PS3_PS5_21rocsparse_index_base_b,"axG",@progbits,_ZN9rocsparseL26coomvn_aos_segmented_loopsILj256Eif21rocsparse_complex_numIfES2_S2_EEvlT0_NS_24const_host_device_scalarIT4_EEPKS3_PKT1_PKT2_PT3_PS3_PS5_21rocsparse_index_base_b,comdat
	.globl	_ZN9rocsparseL26coomvn_aos_segmented_loopsILj256Eif21rocsparse_complex_numIfES2_S2_EEvlT0_NS_24const_host_device_scalarIT4_EEPKS3_PKT1_PKT2_PT3_PS3_PS5_21rocsparse_index_base_b ; -- Begin function _ZN9rocsparseL26coomvn_aos_segmented_loopsILj256Eif21rocsparse_complex_numIfES2_S2_EEvlT0_NS_24const_host_device_scalarIT4_EEPKS3_PKT1_PKT2_PT3_PS3_PS5_21rocsparse_index_base_b
	.p2align	8
	.type	_ZN9rocsparseL26coomvn_aos_segmented_loopsILj256Eif21rocsparse_complex_numIfES2_S2_EEvlT0_NS_24const_host_device_scalarIT4_EEPKS3_PKT1_PKT2_PT3_PS3_PS5_21rocsparse_index_base_b,@function
_ZN9rocsparseL26coomvn_aos_segmented_loopsILj256Eif21rocsparse_complex_numIfES2_S2_EEvlT0_NS_24const_host_device_scalarIT4_EEPKS3_PKT1_PKT2_PT3_PS3_PS5_21rocsparse_index_base_b: ; @_ZN9rocsparseL26coomvn_aos_segmented_loopsILj256Eif21rocsparse_complex_numIfES2_S2_EEvlT0_NS_24const_host_device_scalarIT4_EEPKS3_PKT1_PKT2_PT3_PS3_PS5_21rocsparse_index_base_b
; %bb.0:
	s_clause 0x1
	s_load_b64 s[22:23], s[0:1], 0x48
	s_load_b64 s[2:3], s[0:1], 0x10
	s_mov_b32 s20, s15
	s_waitcnt lgkmcnt(0)
	s_bitcmp1_b32 s23, 0
	v_mov_b32_e32 v12, s2
	s_cselect_b32 s4, -1, 0
	s_delay_alu instid0(SALU_CYCLE_1)
	s_and_b32 vcc_lo, exec_lo, s4
	s_xor_b32 s4, s4, -1
	s_cbranch_vccnz .LBB60_2
; %bb.1:
	v_dual_mov_b32 v1, s2 :: v_dual_mov_b32 v2, s3
	flat_load_b32 v12, v[1:2]
.LBB60_2:
	v_mov_b32_e32 v13, s3
	s_and_not1_b32 vcc_lo, exec_lo, s4
	s_cbranch_vccnz .LBB60_4
; %bb.3:
	v_dual_mov_b32 v1, s2 :: v_dual_mov_b32 v2, s3
	flat_load_b32 v13, v[1:2] offset:4
.LBB60_4:
	s_waitcnt vmcnt(0) lgkmcnt(0)
	v_cmp_neq_f32_e32 vcc_lo, 0, v12
	v_cmp_neq_f32_e64 s2, 0, v13
	s_delay_alu instid0(VALU_DEP_1) | instskip(NEXT) | instid1(SALU_CYCLE_1)
	s_or_b32 s2, vcc_lo, s2
	s_and_saveexec_b32 s3, s2
	s_cbranch_execz .LBB60_91
; %bb.5:
	s_clause 0x3
	s_load_b32 s21, s[0:1], 0x8
	s_load_b64 s[24:25], s[0:1], 0x0
	s_load_b128 s[16:19], s[0:1], 0x18
	s_load_b64 s[28:29], s[0:1], 0x28
	v_dual_mov_b32 v6, 0 :: v_dual_mov_b32 v1, -1
	s_delay_alu instid0(VALU_DEP_1) | instskip(SKIP_3) | instid1(SALU_CYCLE_1)
	v_mov_b32_e32 v3, v6
	v_mov_b32_e32 v4, v6
	s_waitcnt lgkmcnt(0)
	s_mul_i32 s2, s20, s21
	v_lshl_or_b32 v5, s2, 8, v0
	s_mov_b32 s2, exec_lo
	s_delay_alu instid0(VALU_DEP_1)
	v_lshlrev_b64 v[7:8], 3, v[5:6]
	v_lshlrev_b64 v[9:10], 2, v[5:6]
	v_cmpx_gt_i64_e64 s[24:25], v[5:6]
	s_cbranch_execz .LBB60_7
; %bb.6:
	s_delay_alu instid0(VALU_DEP_3) | instskip(NEXT) | instid1(VALU_DEP_4)
	v_add_co_u32 v1, vcc_lo, s16, v7
	v_add_co_ci_u32_e32 v2, vcc_lo, s17, v8, vcc_lo
	s_ashr_i32 s23, s22, 31
	s_delay_alu instid0(SALU_CYCLE_1) | instskip(SKIP_4) | instid1(VALU_DEP_2)
	s_lshl_b64 s[4:5], s[22:23], 3
	global_load_b64 v[1:2], v[1:2], off slc dlc
	s_waitcnt vmcnt(0)
	v_ashrrev_i32_e32 v3, 31, v2
	v_subrev_nc_u32_e32 v1, s22, v1
	v_lshlrev_b64 v[2:3], 3, v[2:3]
	s_delay_alu instid0(VALU_DEP_1) | instskip(NEXT) | instid1(VALU_DEP_2)
	v_add_co_u32 v2, vcc_lo, s28, v2
	v_add_co_ci_u32_e32 v3, vcc_lo, s29, v3, vcc_lo
	s_delay_alu instid0(VALU_DEP_2) | instskip(NEXT) | instid1(VALU_DEP_2)
	v_sub_co_u32 v2, vcc_lo, v2, s4
	v_subrev_co_ci_u32_e32 v3, vcc_lo, s5, v3, vcc_lo
	v_add_co_u32 v14, vcc_lo, s18, v9
	v_add_co_ci_u32_e32 v15, vcc_lo, s19, v10, vcc_lo
	global_load_b64 v[16:17], v[2:3], off
	global_load_b32 v2, v[14:15], off slc dlc
	s_waitcnt vmcnt(0)
	v_mul_f32_e32 v4, v2, v17
	s_delay_alu instid0(VALU_DEP_1) | instskip(NEXT) | instid1(VALU_DEP_1)
	v_dual_mul_f32 v3, 0x80000000, v17 :: v_dual_fmac_f32 v4, 0, v16
	v_fmac_f32_e32 v3, v2, v16
.LBB60_7:
	s_or_b32 exec_lo, exec_lo, s2
	v_lshlrev_b32_e32 v2, 2, v0
	v_lshlrev_b32_e32 v15, 3, v0
	v_cmp_eq_u32_e32 vcc_lo, 0, v0
	v_cmp_ne_u32_e64 s2, 0, v0
	ds_store_b32 v2, v1 offset:2048
	ds_store_b64 v15, v[3:4]
	v_or_b32_e32 v14, 0x800, v2
	s_waitcnt lgkmcnt(0)
	s_barrier
	buffer_gl0_inv
	v_add_nc_u32_e32 v16, -4, v14
	s_and_saveexec_b32 s4, s2
	s_cbranch_execz .LBB60_11
; %bb.8:
	ds_load_b32 v2, v16
	s_mov_b32 s5, exec_lo
	s_waitcnt lgkmcnt(0)
	v_cmpx_eq_u32_e64 v1, v2
	s_cbranch_execz .LBB60_10
; %bb.9:
	v_add_nc_u32_e32 v2, -8, v15
	ds_load_b64 v[17:18], v2
	s_waitcnt lgkmcnt(0)
	v_dual_add_f32 v3, v3, v17 :: v_dual_add_f32 v4, v4, v18
.LBB60_10:
	s_or_b32 exec_lo, exec_lo, s5
.LBB60_11:
	s_delay_alu instid0(SALU_CYCLE_1)
	s_or_b32 exec_lo, exec_lo, s4
	v_cmp_lt_u32_e64 s3, 1, v0
	v_add_nc_u32_e32 v17, -8, v14
	s_barrier
	buffer_gl0_inv
	ds_store_b64 v15, v[3:4]
	s_waitcnt lgkmcnt(0)
	s_barrier
	buffer_gl0_inv
	s_and_saveexec_b32 s5, s3
	s_cbranch_execz .LBB60_15
; %bb.12:
	ds_load_b32 v2, v17
	s_mov_b32 s6, exec_lo
	s_waitcnt lgkmcnt(0)
	v_cmpx_eq_u32_e64 v1, v2
	s_cbranch_execz .LBB60_14
; %bb.13:
	v_add_nc_u32_e32 v2, -16, v15
	ds_load_b64 v[18:19], v2
	s_waitcnt lgkmcnt(0)
	v_dual_add_f32 v3, v3, v18 :: v_dual_add_f32 v4, v4, v19
.LBB60_14:
	s_or_b32 exec_lo, exec_lo, s6
.LBB60_15:
	s_delay_alu instid0(SALU_CYCLE_1)
	s_or_b32 exec_lo, exec_lo, s5
	v_cmp_lt_u32_e64 s4, 3, v0
	v_add_nc_u32_e32 v18, -16, v14
	s_barrier
	buffer_gl0_inv
	ds_store_b64 v15, v[3:4]
	s_waitcnt lgkmcnt(0)
	s_barrier
	buffer_gl0_inv
	s_and_saveexec_b32 s6, s4
	s_cbranch_execz .LBB60_19
; %bb.16:
	ds_load_b32 v2, v18
	s_mov_b32 s7, exec_lo
	s_waitcnt lgkmcnt(0)
	v_cmpx_eq_u32_e64 v1, v2
	s_cbranch_execz .LBB60_18
; %bb.17:
	v_subrev_nc_u32_e32 v2, 32, v15
	ds_load_b64 v[19:20], v2
	s_waitcnt lgkmcnt(0)
	v_dual_add_f32 v3, v3, v19 :: v_dual_add_f32 v4, v4, v20
.LBB60_18:
	s_or_b32 exec_lo, exec_lo, s7
.LBB60_19:
	s_delay_alu instid0(SALU_CYCLE_1)
	s_or_b32 exec_lo, exec_lo, s6
	v_cmp_lt_u32_e64 s5, 7, v0
	v_subrev_nc_u32_e32 v19, 32, v14
	s_barrier
	buffer_gl0_inv
	ds_store_b64 v15, v[3:4]
	s_waitcnt lgkmcnt(0)
	s_barrier
	buffer_gl0_inv
	s_and_saveexec_b32 s7, s5
	s_cbranch_execz .LBB60_23
; %bb.20:
	ds_load_b32 v2, v19
	s_mov_b32 s8, exec_lo
	s_waitcnt lgkmcnt(0)
	v_cmpx_eq_u32_e64 v1, v2
	s_cbranch_execz .LBB60_22
; %bb.21:
	v_subrev_nc_u32_e32 v2, 64, v15
	ds_load_b64 v[20:21], v2
	s_waitcnt lgkmcnt(0)
	v_dual_add_f32 v3, v3, v20 :: v_dual_add_f32 v4, v4, v21
.LBB60_22:
	s_or_b32 exec_lo, exec_lo, s8
.LBB60_23:
	s_delay_alu instid0(SALU_CYCLE_1)
	s_or_b32 exec_lo, exec_lo, s7
	v_cmp_lt_u32_e64 s6, 15, v0
	v_subrev_nc_u32_e32 v20, 64, v14
	s_barrier
	buffer_gl0_inv
	ds_store_b64 v15, v[3:4]
	s_waitcnt lgkmcnt(0)
	s_barrier
	buffer_gl0_inv
	s_and_saveexec_b32 s8, s6
	s_cbranch_execz .LBB60_27
; %bb.24:
	ds_load_b32 v2, v20
	s_mov_b32 s9, exec_lo
	s_waitcnt lgkmcnt(0)
	v_cmpx_eq_u32_e64 v1, v2
	s_cbranch_execz .LBB60_26
; %bb.25:
	v_add_nc_u32_e32 v2, 0xffffff80, v15
	ds_load_b64 v[21:22], v2
	s_waitcnt lgkmcnt(0)
	v_dual_add_f32 v3, v3, v21 :: v_dual_add_f32 v4, v4, v22
.LBB60_26:
	s_or_b32 exec_lo, exec_lo, s9
.LBB60_27:
	s_delay_alu instid0(SALU_CYCLE_1)
	s_or_b32 exec_lo, exec_lo, s8
	v_cmp_lt_u32_e64 s7, 31, v0
	v_add_nc_u32_e32 v21, 0xffffff80, v14
	s_barrier
	buffer_gl0_inv
	ds_store_b64 v15, v[3:4]
	s_waitcnt lgkmcnt(0)
	s_barrier
	buffer_gl0_inv
	s_and_saveexec_b32 s9, s7
	s_cbranch_execz .LBB60_31
; %bb.28:
	ds_load_b32 v2, v21
	s_mov_b32 s10, exec_lo
	s_waitcnt lgkmcnt(0)
	v_cmpx_eq_u32_e64 v1, v2
	s_cbranch_execz .LBB60_30
; %bb.29:
	v_add_nc_u32_e32 v2, 0xffffff00, v15
	ds_load_b64 v[22:23], v2
	s_waitcnt lgkmcnt(0)
	v_dual_add_f32 v3, v3, v22 :: v_dual_add_f32 v4, v4, v23
.LBB60_30:
	s_or_b32 exec_lo, exec_lo, s10
.LBB60_31:
	s_delay_alu instid0(SALU_CYCLE_1)
	s_or_b32 exec_lo, exec_lo, s9
	v_cmp_lt_u32_e64 s8, 63, v0
	v_add_nc_u32_e32 v22, 0xffffff00, v14
	s_barrier
	buffer_gl0_inv
	ds_store_b64 v15, v[3:4]
	s_waitcnt lgkmcnt(0)
	s_barrier
	buffer_gl0_inv
	s_and_saveexec_b32 s10, s8
	s_cbranch_execz .LBB60_35
; %bb.32:
	ds_load_b32 v2, v22
	s_mov_b32 s11, exec_lo
	s_waitcnt lgkmcnt(0)
	v_cmpx_eq_u32_e64 v1, v2
	s_cbranch_execz .LBB60_34
; %bb.33:
	v_add_nc_u32_e32 v2, 0xfffffe00, v15
	ds_load_b64 v[23:24], v2
	s_waitcnt lgkmcnt(0)
	v_dual_add_f32 v3, v3, v23 :: v_dual_add_f32 v4, v4, v24
.LBB60_34:
	s_or_b32 exec_lo, exec_lo, s11
.LBB60_35:
	s_delay_alu instid0(SALU_CYCLE_1)
	s_or_b32 exec_lo, exec_lo, s10
	s_load_b64 s[26:27], s[0:1], 0x30
	v_cmp_lt_u32_e64 s9, 0x7f, v0
	v_add_nc_u32_e32 v23, 0xfffffe00, v14
	s_waitcnt lgkmcnt(0)
	s_barrier
	buffer_gl0_inv
	ds_store_b64 v15, v[3:4]
	s_waitcnt lgkmcnt(0)
	s_barrier
	buffer_gl0_inv
	s_and_saveexec_b32 s11, s9
	s_cbranch_execz .LBB60_39
; %bb.36:
	ds_load_b32 v2, v23
	s_mov_b32 s12, exec_lo
	s_waitcnt lgkmcnt(0)
	v_cmpx_eq_u32_e64 v1, v2
	s_cbranch_execz .LBB60_38
; %bb.37:
	v_add_nc_u32_e32 v2, 0xfffffc00, v15
	ds_load_b64 v[24:25], v2
	s_waitcnt lgkmcnt(0)
	v_dual_add_f32 v3, v3, v24 :: v_dual_add_f32 v4, v4, v25
.LBB60_38:
	s_or_b32 exec_lo, exec_lo, s12
.LBB60_39:
	s_delay_alu instid0(SALU_CYCLE_1)
	s_or_b32 exec_lo, exec_lo, s11
	v_cmp_gt_u32_e64 s10, 0xff, v0
	s_barrier
	buffer_gl0_inv
	ds_store_b64 v15, v[3:4]
	s_waitcnt lgkmcnt(0)
	s_barrier
	buffer_gl0_inv
	s_and_saveexec_b32 s13, s10
	s_cbranch_execz .LBB60_42
; %bb.40:
	ds_load_b32 v2, v14 offset:4
	v_cmp_lt_i32_e64 s12, -1, v1
	s_waitcnt lgkmcnt(0)
	v_cmp_ne_u32_e64 s11, v1, v2
	s_delay_alu instid0(VALU_DEP_1) | instskip(NEXT) | instid1(SALU_CYCLE_1)
	s_and_b32 s11, s12, s11
	s_and_b32 exec_lo, exec_lo, s11
	s_cbranch_execz .LBB60_42
; %bb.41:
	v_mov_b32_e32 v2, 0
	s_delay_alu instid0(VALU_DEP_1) | instskip(NEXT) | instid1(VALU_DEP_1)
	v_lshlrev_b64 v[24:25], 3, v[1:2]
	v_add_co_u32 v24, s11, s26, v24
	s_delay_alu instid0(VALU_DEP_1) | instskip(SKIP_4) | instid1(VALU_DEP_2)
	v_add_co_ci_u32_e64 v25, s11, s27, v25, s11
	global_load_b64 v[26:27], v[24:25], off
	s_waitcnt vmcnt(0)
	v_fmac_f32_e32 v27, v13, v3
	v_fma_f32 v2, v12, v3, v26
	v_fmac_f32_e32 v27, v12, v4
	s_delay_alu instid0(VALU_DEP_2)
	v_fma_f32 v26, -v13, v4, v2
	global_store_b64 v[24:25], v[26:27], off
.LBB60_42:
	s_or_b32 exec_lo, exec_lo, s13
	s_load_b128 s[12:15], s[0:1], 0x38
	s_cmp_lt_i32 s21, 2
	s_cbranch_scc1 .LBB60_89
; %bb.43:
	s_ashr_i32 s23, s22, 31
	v_add_nc_u32_e32 v24, -8, v15
	s_lshl_b64 s[0:1], s[22:23], 3
	v_add_nc_u32_e32 v25, -16, v15
	s_sub_u32 s11, s28, s0
	v_add_co_u32 v1, s0, v9, s18
	s_delay_alu instid0(VALU_DEP_1) | instskip(SKIP_1) | instid1(VALU_DEP_1)
	v_add_co_ci_u32_e64 v2, s0, s19, v10, s0
	v_add_co_u32 v3, s0, v7, s16
	v_add_co_ci_u32_e64 v4, s0, s17, v8, s0
	s_delay_alu instid0(VALU_DEP_4) | instskip(NEXT) | instid1(VALU_DEP_1)
	v_add_co_u32 v6, s0, 0x400, v1
	v_add_co_ci_u32_e64 v7, s0, 0, v2, s0
	v_mov_b32_e32 v2, 0
	v_add_co_u32 v8, s0, 0x800, v3
	s_delay_alu instid0(VALU_DEP_1)
	v_add_co_ci_u32_e64 v9, s0, 0, v4, s0
	v_add_co_u32 v10, s0, 0x100, v5
	v_subrev_nc_u32_e32 v26, 32, v15
	v_subrev_nc_u32_e32 v27, 64, v15
	v_add_nc_u32_e32 v28, 0xffffff80, v15
	v_add_nc_u32_e32 v29, 0xffffff00, v15
	;; [unrolled: 1-line block ×4, first 2 shown]
	v_add_co_ci_u32_e64 v11, null, 0, 0, s0
	s_subb_u32 s18, s29, s1
	s_add_i32 s19, s21, -1
	s_mov_b32 s17, 0
	s_branch .LBB60_45
.LBB60_44:                              ;   in Loop: Header=BB60_45 Depth=1
	s_or_b32 exec_lo, exec_lo, s16
	v_add_co_u32 v6, s0, 0x400, v6
	s_delay_alu instid0(VALU_DEP_1) | instskip(SKIP_1) | instid1(VALU_DEP_1)
	v_add_co_ci_u32_e64 v7, s0, 0, v7, s0
	v_add_co_u32 v8, s0, 0x800, v8
	v_add_co_ci_u32_e64 v9, s0, 0, v9, s0
	v_add_co_u32 v10, s0, 0x100, v10
	s_delay_alu instid0(VALU_DEP_1) | instskip(SKIP_1) | instid1(SALU_CYCLE_1)
	v_add_co_ci_u32_e64 v11, s0, 0, v11, s0
	s_add_i32 s19, s19, -1
	s_cmp_eq_u32 s19, 0
	s_cbranch_scc1 .LBB60_89
.LBB60_45:                              ; =>This Inner Loop Header: Depth=1
	v_dual_mov_b32 v1, -1 :: v_dual_mov_b32 v4, 0
	v_mov_b32_e32 v3, 0
	s_mov_b32 s1, exec_lo
	v_cmpx_gt_i64_e64 s[24:25], v[10:11]
	s_cbranch_execz .LBB60_47
; %bb.46:                               ;   in Loop: Header=BB60_45 Depth=1
	global_load_b64 v[32:33], v[8:9], off slc dlc
	s_waitcnt vmcnt(0)
	v_ashrrev_i32_e32 v4, 31, v33
	v_mov_b32_e32 v3, v33
	v_subrev_nc_u32_e32 v1, s22, v32
	s_delay_alu instid0(VALU_DEP_2) | instskip(NEXT) | instid1(VALU_DEP_1)
	v_lshlrev_b64 v[3:4], 3, v[3:4]
	v_add_co_u32 v3, s0, s11, v3
	s_delay_alu instid0(VALU_DEP_1)
	v_add_co_ci_u32_e64 v4, s0, s18, v4, s0
	global_load_b64 v[33:34], v[3:4], off
	global_load_b32 v5, v[6:7], off slc dlc
	s_waitcnt vmcnt(1)
	v_mul_f32_e32 v3, 0x80000000, v34
	s_waitcnt vmcnt(0)
	v_mul_f32_e32 v4, v5, v34
	s_delay_alu instid0(VALU_DEP_2) | instskip(NEXT) | instid1(VALU_DEP_2)
	v_fmac_f32_e32 v3, v5, v33
	v_fmac_f32_e32 v4, 0, v33
.LBB60_47:                              ;   in Loop: Header=BB60_45 Depth=1
	s_or_b32 exec_lo, exec_lo, s1
	s_and_saveexec_b32 s1, vcc_lo
	s_cbranch_execz .LBB60_54
; %bb.48:                               ;   in Loop: Header=BB60_45 Depth=1
	ds_load_b32 v5, v2 offset:3068
	s_waitcnt lgkmcnt(0)
	v_readfirstlane_b32 s16, v5
	v_cmp_ne_u32_e64 s0, v1, v5
	s_delay_alu instid0(VALU_DEP_1) | instskip(NEXT) | instid1(SALU_CYCLE_1)
	s_and_saveexec_b32 s21, s0
	s_xor_b32 s0, exec_lo, s21
	s_cbranch_execz .LBB60_51
; %bb.49:                               ;   in Loop: Header=BB60_45 Depth=1
	s_cmp_lt_i32 s16, 0
	s_cbranch_scc1 .LBB60_51
; %bb.50:                               ;   in Loop: Header=BB60_45 Depth=1
	s_lshl_b64 s[28:29], s[16:17], 3
	ds_load_b64 v[34:35], v2 offset:2040
	s_add_u32 s28, s26, s28
	s_addc_u32 s29, s27, s29
	global_load_b64 v[32:33], v2, s[28:29]
	s_waitcnt vmcnt(0) lgkmcnt(0)
	v_fma_f32 v5, v12, v34, v32
	v_fmac_f32_e32 v33, v13, v34
	s_delay_alu instid0(VALU_DEP_2) | instskip(NEXT) | instid1(VALU_DEP_2)
	v_fma_f32 v32, -v13, v35, v5
	v_fmac_f32_e32 v33, v12, v35
	global_store_b64 v2, v[32:33], s[28:29]
.LBB60_51:                              ;   in Loop: Header=BB60_45 Depth=1
	s_and_not1_saveexec_b32 s0, s0
	s_cbranch_execz .LBB60_53
; %bb.52:                               ;   in Loop: Header=BB60_45 Depth=1
	ds_load_b64 v[32:33], v2 offset:2040
	s_waitcnt lgkmcnt(0)
	v_dual_add_f32 v3, v3, v32 :: v_dual_add_f32 v4, v4, v33
.LBB60_53:                              ;   in Loop: Header=BB60_45 Depth=1
	s_or_b32 exec_lo, exec_lo, s0
.LBB60_54:                              ;   in Loop: Header=BB60_45 Depth=1
	s_delay_alu instid0(SALU_CYCLE_1)
	s_or_b32 exec_lo, exec_lo, s1
	s_waitcnt lgkmcnt(0)
	s_waitcnt_vscnt null, 0x0
	s_barrier
	buffer_gl0_inv
	ds_store_b32 v14, v1
	ds_store_b64 v15, v[3:4]
	s_waitcnt lgkmcnt(0)
	s_barrier
	buffer_gl0_inv
	s_and_saveexec_b32 s1, s2
	s_cbranch_execz .LBB60_58
; %bb.55:                               ;   in Loop: Header=BB60_45 Depth=1
	ds_load_b32 v5, v16
	s_mov_b32 s16, exec_lo
	s_waitcnt lgkmcnt(0)
	v_cmpx_eq_u32_e64 v1, v5
	s_cbranch_execz .LBB60_57
; %bb.56:                               ;   in Loop: Header=BB60_45 Depth=1
	ds_load_b64 v[32:33], v24
	s_waitcnt lgkmcnt(0)
	v_dual_add_f32 v3, v3, v32 :: v_dual_add_f32 v4, v4, v33
.LBB60_57:                              ;   in Loop: Header=BB60_45 Depth=1
	s_or_b32 exec_lo, exec_lo, s16
.LBB60_58:                              ;   in Loop: Header=BB60_45 Depth=1
	s_delay_alu instid0(SALU_CYCLE_1)
	s_or_b32 exec_lo, exec_lo, s1
	s_barrier
	buffer_gl0_inv
	ds_store_b64 v15, v[3:4]
	s_waitcnt lgkmcnt(0)
	s_barrier
	buffer_gl0_inv
	s_and_saveexec_b32 s1, s3
	s_cbranch_execz .LBB60_62
; %bb.59:                               ;   in Loop: Header=BB60_45 Depth=1
	ds_load_b32 v5, v17
	s_mov_b32 s16, exec_lo
	s_waitcnt lgkmcnt(0)
	v_cmpx_eq_u32_e64 v1, v5
	s_cbranch_execz .LBB60_61
; %bb.60:                               ;   in Loop: Header=BB60_45 Depth=1
	ds_load_b64 v[32:33], v25
	s_waitcnt lgkmcnt(0)
	v_dual_add_f32 v3, v3, v32 :: v_dual_add_f32 v4, v4, v33
.LBB60_61:                              ;   in Loop: Header=BB60_45 Depth=1
	s_or_b32 exec_lo, exec_lo, s16
.LBB60_62:                              ;   in Loop: Header=BB60_45 Depth=1
	s_delay_alu instid0(SALU_CYCLE_1)
	s_or_b32 exec_lo, exec_lo, s1
	s_barrier
	buffer_gl0_inv
	;; [unrolled: 23-line block ×8, first 2 shown]
	ds_store_b64 v15, v[3:4]
	s_waitcnt lgkmcnt(0)
	s_barrier
	buffer_gl0_inv
	s_and_saveexec_b32 s16, s10
	s_cbranch_execz .LBB60_44
; %bb.87:                               ;   in Loop: Header=BB60_45 Depth=1
	ds_load_b32 v5, v14 offset:4
	v_cmp_lt_i32_e64 s1, -1, v1
	s_waitcnt lgkmcnt(0)
	v_cmp_ne_u32_e64 s0, v1, v5
	s_delay_alu instid0(VALU_DEP_1) | instskip(NEXT) | instid1(SALU_CYCLE_1)
	s_and_b32 s0, s1, s0
	s_and_b32 exec_lo, exec_lo, s0
	s_cbranch_execz .LBB60_44
; %bb.88:                               ;   in Loop: Header=BB60_45 Depth=1
	v_lshlrev_b64 v[32:33], 3, v[1:2]
	s_delay_alu instid0(VALU_DEP_1) | instskip(NEXT) | instid1(VALU_DEP_1)
	v_add_co_u32 v32, s0, s26, v32
	v_add_co_ci_u32_e64 v33, s0, s27, v33, s0
	global_load_b64 v[34:35], v[32:33], off
	s_waitcnt vmcnt(0)
	v_fma_f32 v5, v12, v3, v34
	v_fmac_f32_e32 v35, v13, v3
	s_delay_alu instid0(VALU_DEP_2) | instskip(NEXT) | instid1(VALU_DEP_2)
	v_fma_f32 v34, -v13, v4, v5
	v_fmac_f32_e32 v35, v12, v4
	global_store_b64 v[32:33], v[34:35], off
	s_branch .LBB60_44
.LBB60_89:
	v_cmp_eq_u32_e32 vcc_lo, 0xff, v0
	s_and_b32 exec_lo, exec_lo, vcc_lo
	s_cbranch_execz .LBB60_91
; %bb.90:
	s_mov_b32 s21, 0
	v_mul_f32_e64 v5, v4, -v13
	v_mul_f32_e32 v6, v12, v4
	s_lshl_b64 s[0:1], s[20:21], 2
	v_mov_b32_e32 v0, 0
	s_waitcnt lgkmcnt(0)
	s_add_u32 s0, s12, s0
	v_fmac_f32_e32 v5, v12, v3
	s_addc_u32 s1, s13, s1
	v_fmac_f32_e32 v6, v13, v3
	s_lshl_b64 s[2:3], s[20:21], 3
	s_delay_alu instid0(SALU_CYCLE_1)
	s_add_u32 s2, s14, s2
	s_addc_u32 s3, s15, s3
	s_clause 0x1
	global_store_b32 v0, v1, s[0:1] glc slc dlc
	global_store_b64 v0, v[5:6], s[2:3] glc slc dlc
.LBB60_91:
	s_nop 0
	s_sendmsg sendmsg(MSG_DEALLOC_VGPRS)
	s_endpgm
	.section	.rodata,"a",@progbits
	.p2align	6, 0x0
	.amdhsa_kernel _ZN9rocsparseL26coomvn_aos_segmented_loopsILj256Eif21rocsparse_complex_numIfES2_S2_EEvlT0_NS_24const_host_device_scalarIT4_EEPKS3_PKT1_PKT2_PT3_PS3_PS5_21rocsparse_index_base_b
		.amdhsa_group_segment_fixed_size 3072
		.amdhsa_private_segment_fixed_size 0
		.amdhsa_kernarg_size 80
		.amdhsa_user_sgpr_count 15
		.amdhsa_user_sgpr_dispatch_ptr 0
		.amdhsa_user_sgpr_queue_ptr 0
		.amdhsa_user_sgpr_kernarg_segment_ptr 1
		.amdhsa_user_sgpr_dispatch_id 0
		.amdhsa_user_sgpr_private_segment_size 0
		.amdhsa_wavefront_size32 1
		.amdhsa_uses_dynamic_stack 0
		.amdhsa_enable_private_segment 0
		.amdhsa_system_sgpr_workgroup_id_x 1
		.amdhsa_system_sgpr_workgroup_id_y 0
		.amdhsa_system_sgpr_workgroup_id_z 0
		.amdhsa_system_sgpr_workgroup_info 0
		.amdhsa_system_vgpr_workitem_id 0
		.amdhsa_next_free_vgpr 36
		.amdhsa_next_free_sgpr 30
		.amdhsa_reserve_vcc 1
		.amdhsa_float_round_mode_32 0
		.amdhsa_float_round_mode_16_64 0
		.amdhsa_float_denorm_mode_32 3
		.amdhsa_float_denorm_mode_16_64 3
		.amdhsa_dx10_clamp 1
		.amdhsa_ieee_mode 1
		.amdhsa_fp16_overflow 0
		.amdhsa_workgroup_processor_mode 1
		.amdhsa_memory_ordered 1
		.amdhsa_forward_progress 0
		.amdhsa_shared_vgpr_count 0
		.amdhsa_exception_fp_ieee_invalid_op 0
		.amdhsa_exception_fp_denorm_src 0
		.amdhsa_exception_fp_ieee_div_zero 0
		.amdhsa_exception_fp_ieee_overflow 0
		.amdhsa_exception_fp_ieee_underflow 0
		.amdhsa_exception_fp_ieee_inexact 0
		.amdhsa_exception_int_div_zero 0
	.end_amdhsa_kernel
	.section	.text._ZN9rocsparseL26coomvn_aos_segmented_loopsILj256Eif21rocsparse_complex_numIfES2_S2_EEvlT0_NS_24const_host_device_scalarIT4_EEPKS3_PKT1_PKT2_PT3_PS3_PS5_21rocsparse_index_base_b,"axG",@progbits,_ZN9rocsparseL26coomvn_aos_segmented_loopsILj256Eif21rocsparse_complex_numIfES2_S2_EEvlT0_NS_24const_host_device_scalarIT4_EEPKS3_PKT1_PKT2_PT3_PS3_PS5_21rocsparse_index_base_b,comdat
.Lfunc_end60:
	.size	_ZN9rocsparseL26coomvn_aos_segmented_loopsILj256Eif21rocsparse_complex_numIfES2_S2_EEvlT0_NS_24const_host_device_scalarIT4_EEPKS3_PKT1_PKT2_PT3_PS3_PS5_21rocsparse_index_base_b, .Lfunc_end60-_ZN9rocsparseL26coomvn_aos_segmented_loopsILj256Eif21rocsparse_complex_numIfES2_S2_EEvlT0_NS_24const_host_device_scalarIT4_EEPKS3_PKT1_PKT2_PT3_PS3_PS5_21rocsparse_index_base_b
                                        ; -- End function
	.section	.AMDGPU.csdata,"",@progbits
; Kernel info:
; codeLenInByte = 3304
; NumSgprs: 32
; NumVgprs: 36
; ScratchSize: 0
; MemoryBound: 0
; FloatMode: 240
; IeeeMode: 1
; LDSByteSize: 3072 bytes/workgroup (compile time only)
; SGPRBlocks: 3
; VGPRBlocks: 4
; NumSGPRsForWavesPerEU: 32
; NumVGPRsForWavesPerEU: 36
; Occupancy: 16
; WaveLimiterHint : 1
; COMPUTE_PGM_RSRC2:SCRATCH_EN: 0
; COMPUTE_PGM_RSRC2:USER_SGPR: 15
; COMPUTE_PGM_RSRC2:TRAP_HANDLER: 0
; COMPUTE_PGM_RSRC2:TGID_X_EN: 1
; COMPUTE_PGM_RSRC2:TGID_Y_EN: 0
; COMPUTE_PGM_RSRC2:TGID_Z_EN: 0
; COMPUTE_PGM_RSRC2:TIDIG_COMP_CNT: 0
	.section	.text._ZN9rocsparseL23coomvn_aos_atomic_loopsILj256ELj1Elf21rocsparse_complex_numIfES2_S2_EEvlNS_24const_host_device_scalarIT5_EEPKT1_PKT2_PKT3_PT4_21rocsparse_index_base_b,"axG",@progbits,_ZN9rocsparseL23coomvn_aos_atomic_loopsILj256ELj1Elf21rocsparse_complex_numIfES2_S2_EEvlNS_24const_host_device_scalarIT5_EEPKT1_PKT2_PKT3_PT4_21rocsparse_index_base_b,comdat
	.globl	_ZN9rocsparseL23coomvn_aos_atomic_loopsILj256ELj1Elf21rocsparse_complex_numIfES2_S2_EEvlNS_24const_host_device_scalarIT5_EEPKT1_PKT2_PKT3_PT4_21rocsparse_index_base_b ; -- Begin function _ZN9rocsparseL23coomvn_aos_atomic_loopsILj256ELj1Elf21rocsparse_complex_numIfES2_S2_EEvlNS_24const_host_device_scalarIT5_EEPKT1_PKT2_PKT3_PT4_21rocsparse_index_base_b
	.p2align	8
	.type	_ZN9rocsparseL23coomvn_aos_atomic_loopsILj256ELj1Elf21rocsparse_complex_numIfES2_S2_EEvlNS_24const_host_device_scalarIT5_EEPKT1_PKT2_PKT3_PT4_21rocsparse_index_base_b,@function
_ZN9rocsparseL23coomvn_aos_atomic_loopsILj256ELj1Elf21rocsparse_complex_numIfES2_S2_EEvlNS_24const_host_device_scalarIT5_EEPKT1_PKT2_PKT3_PT4_21rocsparse_index_base_b: ; @_ZN9rocsparseL23coomvn_aos_atomic_loopsILj256ELj1Elf21rocsparse_complex_numIfES2_S2_EEvlNS_24const_host_device_scalarIT5_EEPKT1_PKT2_PKT3_PT4_21rocsparse_index_base_b
; %bb.0:
	s_clause 0x2
	s_load_b64 s[8:9], s[0:1], 0x30
	s_load_b64 s[2:3], s[0:1], 0x8
	s_load_b128 s[4:7], s[0:1], 0x0
	s_waitcnt lgkmcnt(0)
	s_bitcmp1_b32 s9, 0
	v_mov_b32_e32 v9, s2
	s_cselect_b32 s9, -1, 0
	s_delay_alu instid0(SALU_CYCLE_1)
	s_and_b32 vcc_lo, exec_lo, s9
	s_xor_b32 s2, s9, -1
	s_cbranch_vccnz .LBB61_2
; %bb.1:
	v_dual_mov_b32 v1, s6 :: v_dual_mov_b32 v2, s7
	flat_load_b32 v9, v[1:2]
.LBB61_2:
	v_mov_b32_e32 v10, s3
	s_and_not1_b32 vcc_lo, exec_lo, s2
	s_cbranch_vccnz .LBB61_4
; %bb.3:
	v_dual_mov_b32 v1, s6 :: v_dual_mov_b32 v2, s7
	flat_load_b32 v10, v[1:2] offset:4
.LBB61_4:
	s_waitcnt vmcnt(0) lgkmcnt(0)
	v_cmp_neq_f32_e32 vcc_lo, 0, v9
	v_cmp_neq_f32_e64 s2, 0, v10
	s_delay_alu instid0(VALU_DEP_1) | instskip(NEXT) | instid1(SALU_CYCLE_1)
	s_or_b32 s2, vcc_lo, s2
	s_and_saveexec_b32 s3, s2
	s_cbranch_execz .LBB61_50
; %bb.5:
	v_dual_mov_b32 v6, 0 :: v_dual_mov_b32 v3, -1
	v_lshl_or_b32 v5, s15, 8, v0
	v_mov_b32_e32 v4, -1
	s_mov_b32 s2, exec_lo
	s_delay_alu instid0(VALU_DEP_3)
	v_mov_b32_e32 v1, v6
	v_mov_b32_e32 v2, v6
	v_cmpx_gt_i64_e64 s[4:5], v[5:6]
	s_cbranch_execz .LBB61_7
; %bb.6:
	s_clause 0x1
	s_load_b128 s[4:7], s[0:1], 0x10
	s_load_b64 s[10:11], s[0:1], 0x20
	v_lshlrev_b64 v[1:2], 4, v[5:6]
	v_lshlrev_b64 v[3:4], 2, v[5:6]
	s_waitcnt lgkmcnt(0)
	s_delay_alu instid0(VALU_DEP_2) | instskip(NEXT) | instid1(VALU_DEP_3)
	v_add_co_u32 v1, vcc_lo, s4, v1
	v_add_co_ci_u32_e32 v2, vcc_lo, s5, v2, vcc_lo
	global_load_b128 v[11:14], v[1:2], off slc dlc
	s_waitcnt vmcnt(0)
	v_sub_co_u32 v1, vcc_lo, v13, s8
	v_subrev_co_ci_u32_e32 v2, vcc_lo, 0, v14, vcc_lo
	s_delay_alu instid0(VALU_DEP_1) | instskip(NEXT) | instid1(VALU_DEP_1)
	v_lshlrev_b64 v[1:2], 3, v[1:2]
	v_add_co_u32 v1, vcc_lo, s10, v1
	s_delay_alu instid0(VALU_DEP_2)
	v_add_co_ci_u32_e32 v2, vcc_lo, s11, v2, vcc_lo
	v_add_co_u32 v3, vcc_lo, s6, v3
	v_add_co_ci_u32_e32 v4, vcc_lo, s7, v4, vcc_lo
	global_load_b64 v[5:6], v[1:2], off
	global_load_b32 v7, v[3:4], off slc dlc
	v_sub_co_u32 v3, vcc_lo, v11, s8
	v_subrev_co_ci_u32_e32 v4, vcc_lo, 0, v12, vcc_lo
	s_waitcnt vmcnt(0)
	v_mul_f32_e32 v2, v7, v6
	s_delay_alu instid0(VALU_DEP_1) | instskip(NEXT) | instid1(VALU_DEP_1)
	v_dual_mul_f32 v1, 0x80000000, v6 :: v_dual_fmac_f32 v2, 0, v5
	v_fmac_f32_e32 v1, v7, v5
.LBB61_7:
	s_or_b32 exec_lo, exec_lo, s2
	v_lshlrev_b32_e32 v5, 3, v0
	s_mov_b32 s2, exec_lo
	s_delay_alu instid0(VALU_DEP_1)
	v_or_b32_e32 v6, 0x800, v5
	ds_store_2addr_stride64_b64 v5, v[3:4], v[1:2] offset1:4
	s_waitcnt lgkmcnt(0)
	s_barrier
	buffer_gl0_inv
	v_cmpx_ne_u32_e32 0, v0
	s_cbranch_execz .LBB61_11
; %bb.8:
	v_add_nc_u32_e32 v7, -8, v5
	s_mov_b32 s3, exec_lo
	ds_load_b64 v[7:8], v7
	s_waitcnt lgkmcnt(0)
	v_cmpx_eq_u64_e64 v[3:4], v[7:8]
	s_cbranch_execz .LBB61_10
; %bb.9:
	v_add_nc_u32_e32 v7, -8, v6
	ds_load_b64 v[7:8], v7
	s_waitcnt lgkmcnt(0)
	v_dual_add_f32 v2, v2, v8 :: v_dual_add_f32 v1, v1, v7
.LBB61_10:
	s_or_b32 exec_lo, exec_lo, s3
.LBB61_11:
	s_delay_alu instid0(SALU_CYCLE_1) | instskip(NEXT) | instid1(SALU_CYCLE_1)
	s_or_b32 exec_lo, exec_lo, s2
	s_mov_b32 s2, exec_lo
	s_barrier
	buffer_gl0_inv
	ds_store_b64 v6, v[1:2]
	s_waitcnt lgkmcnt(0)
	s_barrier
	buffer_gl0_inv
	v_cmpx_lt_u32_e32 1, v0
	s_cbranch_execz .LBB61_15
; %bb.12:
	v_add_nc_u32_e32 v7, -16, v5
	s_mov_b32 s3, exec_lo
	ds_load_b64 v[7:8], v7
	s_waitcnt lgkmcnt(0)
	v_cmpx_eq_u64_e64 v[3:4], v[7:8]
	s_cbranch_execz .LBB61_14
; %bb.13:
	v_add_nc_u32_e32 v7, -16, v6
	ds_load_b64 v[7:8], v7
	s_waitcnt lgkmcnt(0)
	v_dual_add_f32 v2, v2, v8 :: v_dual_add_f32 v1, v1, v7
.LBB61_14:
	s_or_b32 exec_lo, exec_lo, s3
.LBB61_15:
	s_delay_alu instid0(SALU_CYCLE_1) | instskip(NEXT) | instid1(SALU_CYCLE_1)
	s_or_b32 exec_lo, exec_lo, s2
	s_mov_b32 s2, exec_lo
	s_barrier
	buffer_gl0_inv
	ds_store_b64 v6, v[1:2]
	s_waitcnt lgkmcnt(0)
	s_barrier
	buffer_gl0_inv
	v_cmpx_lt_u32_e32 3, v0
	s_cbranch_execz .LBB61_19
; %bb.16:
	v_subrev_nc_u32_e32 v7, 32, v5
	s_mov_b32 s3, exec_lo
	ds_load_b64 v[7:8], v7
	s_waitcnt lgkmcnt(0)
	v_cmpx_eq_u64_e64 v[3:4], v[7:8]
	s_cbranch_execz .LBB61_18
; %bb.17:
	v_subrev_nc_u32_e32 v7, 32, v6
	ds_load_b64 v[7:8], v7
	s_waitcnt lgkmcnt(0)
	v_dual_add_f32 v1, v1, v7 :: v_dual_add_f32 v2, v2, v8
.LBB61_18:
	s_or_b32 exec_lo, exec_lo, s3
.LBB61_19:
	s_delay_alu instid0(SALU_CYCLE_1) | instskip(NEXT) | instid1(SALU_CYCLE_1)
	s_or_b32 exec_lo, exec_lo, s2
	s_mov_b32 s2, exec_lo
	s_barrier
	buffer_gl0_inv
	ds_store_b64 v6, v[1:2]
	s_waitcnt lgkmcnt(0)
	s_barrier
	buffer_gl0_inv
	v_cmpx_lt_u32_e32 7, v0
	s_cbranch_execz .LBB61_23
; %bb.20:
	v_subrev_nc_u32_e32 v7, 64, v5
	s_mov_b32 s3, exec_lo
	ds_load_b64 v[7:8], v7
	s_waitcnt lgkmcnt(0)
	v_cmpx_eq_u64_e64 v[3:4], v[7:8]
	s_cbranch_execz .LBB61_22
; %bb.21:
	v_subrev_nc_u32_e32 v7, 64, v6
	ds_load_b64 v[7:8], v7
	s_waitcnt lgkmcnt(0)
	v_dual_add_f32 v1, v1, v7 :: v_dual_add_f32 v2, v2, v8
.LBB61_22:
	s_or_b32 exec_lo, exec_lo, s3
.LBB61_23:
	s_delay_alu instid0(SALU_CYCLE_1) | instskip(NEXT) | instid1(SALU_CYCLE_1)
	s_or_b32 exec_lo, exec_lo, s2
	s_mov_b32 s2, exec_lo
	s_barrier
	buffer_gl0_inv
	ds_store_b64 v6, v[1:2]
	s_waitcnt lgkmcnt(0)
	s_barrier
	buffer_gl0_inv
	v_cmpx_lt_u32_e32 15, v0
	s_cbranch_execz .LBB61_27
; %bb.24:
	v_add_nc_u32_e32 v7, 0xffffff80, v5
	s_mov_b32 s3, exec_lo
	ds_load_b64 v[7:8], v7
	s_waitcnt lgkmcnt(0)
	v_cmpx_eq_u64_e64 v[3:4], v[7:8]
	s_cbranch_execz .LBB61_26
; %bb.25:
	v_add_nc_u32_e32 v7, 0xffffff80, v6
	ds_load_b64 v[7:8], v7
	s_waitcnt lgkmcnt(0)
	v_dual_add_f32 v2, v2, v8 :: v_dual_add_f32 v1, v1, v7
.LBB61_26:
	s_or_b32 exec_lo, exec_lo, s3
.LBB61_27:
	s_delay_alu instid0(SALU_CYCLE_1) | instskip(NEXT) | instid1(SALU_CYCLE_1)
	s_or_b32 exec_lo, exec_lo, s2
	s_mov_b32 s2, exec_lo
	s_barrier
	buffer_gl0_inv
	ds_store_b64 v6, v[1:2]
	s_waitcnt lgkmcnt(0)
	s_barrier
	buffer_gl0_inv
	v_cmpx_lt_u32_e32 31, v0
	s_cbranch_execz .LBB61_31
; %bb.28:
	v_add_nc_u32_e32 v7, 0xffffff00, v5
	s_mov_b32 s3, exec_lo
	ds_load_b64 v[7:8], v7
	s_waitcnt lgkmcnt(0)
	v_cmpx_eq_u64_e64 v[3:4], v[7:8]
	s_cbranch_execz .LBB61_30
; %bb.29:
	v_add_nc_u32_e32 v7, 0xffffff00, v6
	ds_load_b64 v[7:8], v7
	s_waitcnt lgkmcnt(0)
	v_dual_add_f32 v2, v2, v8 :: v_dual_add_f32 v1, v1, v7
.LBB61_30:
	s_or_b32 exec_lo, exec_lo, s3
.LBB61_31:
	;; [unrolled: 26-line block ×3, first 2 shown]
	s_delay_alu instid0(SALU_CYCLE_1)
	s_or_b32 exec_lo, exec_lo, s2
	s_load_b64 s[2:3], s[0:1], 0x28
	s_mov_b32 s0, exec_lo
	s_waitcnt lgkmcnt(0)
	s_barrier
	buffer_gl0_inv
	ds_store_b64 v6, v[1:2]
	s_waitcnt lgkmcnt(0)
	s_barrier
	buffer_gl0_inv
	v_cmpx_lt_u32_e32 0x7f, v0
	s_cbranch_execz .LBB61_39
; %bb.36:
	v_add_nc_u32_e32 v7, 0xfffffc00, v5
	s_mov_b32 s1, exec_lo
	ds_load_b64 v[7:8], v7
	s_waitcnt lgkmcnt(0)
	v_cmpx_eq_u64_e64 v[3:4], v[7:8]
	s_cbranch_execz .LBB61_38
; %bb.37:
	v_add_nc_u32_e32 v7, 0xfffffc00, v6
	ds_load_b64 v[7:8], v7
	s_waitcnt lgkmcnt(0)
	v_dual_add_f32 v2, v2, v8 :: v_dual_add_f32 v1, v1, v7
.LBB61_38:
	s_or_b32 exec_lo, exec_lo, s1
.LBB61_39:
	s_delay_alu instid0(SALU_CYCLE_1) | instskip(NEXT) | instid1(SALU_CYCLE_1)
	s_or_b32 exec_lo, exec_lo, s0
	s_mov_b32 s1, exec_lo
	s_barrier
	buffer_gl0_inv
	ds_store_b64 v6, v[1:2]
	s_waitcnt lgkmcnt(0)
	s_barrier
	buffer_gl0_inv
	v_cmpx_gt_u32_e32 0xff, v0
	s_cbranch_execz .LBB61_45
; %bb.40:
	ds_load_b64 v[5:6], v5 offset:8
	v_cmp_lt_i64_e64 s0, -1, v[3:4]
	s_waitcnt lgkmcnt(0)
	v_cmp_ne_u64_e32 vcc_lo, v[3:4], v[5:6]
	s_delay_alu instid0(VALU_DEP_2) | instskip(NEXT) | instid1(SALU_CYCLE_1)
	s_and_b32 s0, s0, vcc_lo
	s_and_b32 exec_lo, exec_lo, s0
	s_cbranch_execz .LBB61_45
; %bb.41:
	v_lshlrev_b64 v[5:6], 3, v[3:4]
	v_mul_f32_e64 v11, v2, -v10
	s_mov_b32 s0, 0
	s_delay_alu instid0(VALU_DEP_1) | instskip(NEXT) | instid1(VALU_DEP_3)
	v_fmac_f32_e32 v11, v9, v1
	v_add_co_u32 v5, vcc_lo, s2, v5
	s_delay_alu instid0(VALU_DEP_4)
	v_add_co_ci_u32_e32 v6, vcc_lo, s3, v6, vcc_lo
	global_load_b32 v8, v[5:6], off
.LBB61_42:                              ; =>This Inner Loop Header: Depth=1
	s_waitcnt vmcnt(0)
	v_add_f32_e32 v7, v8, v11
	global_atomic_cmpswap_b32 v7, v[5:6], v[7:8], off glc
	s_waitcnt vmcnt(0)
	v_cmp_eq_u32_e32 vcc_lo, v7, v8
	v_mov_b32_e32 v8, v7
	s_or_b32 s0, vcc_lo, s0
	s_delay_alu instid0(SALU_CYCLE_1)
	s_and_not1_b32 exec_lo, exec_lo, s0
	s_cbranch_execnz .LBB61_42
; %bb.43:
	s_or_b32 exec_lo, exec_lo, s0
	global_load_b32 v8, v[5:6], off offset:4
	v_mul_f32_e32 v11, v9, v2
	s_mov_b32 s0, 0
	s_delay_alu instid0(VALU_DEP_1)
	v_fmac_f32_e32 v11, v10, v1
.LBB61_44:                              ; =>This Inner Loop Header: Depth=1
	s_waitcnt vmcnt(0)
	s_delay_alu instid0(VALU_DEP_1)
	v_add_f32_e32 v7, v8, v11
	global_atomic_cmpswap_b32 v7, v[5:6], v[7:8], off offset:4 glc
	s_waitcnt vmcnt(0)
	v_cmp_eq_u32_e32 vcc_lo, v7, v8
	v_mov_b32_e32 v8, v7
	s_or_b32 s0, vcc_lo, s0
	s_delay_alu instid0(SALU_CYCLE_1)
	s_and_not1_b32 exec_lo, exec_lo, s0
	s_cbranch_execnz .LBB61_44
.LBB61_45:
	s_or_b32 exec_lo, exec_lo, s1
	v_cmp_lt_i64_e32 vcc_lo, -1, v[3:4]
	v_cmp_eq_u32_e64 s0, 0xff, v0
	s_delay_alu instid0(VALU_DEP_1) | instskip(NEXT) | instid1(SALU_CYCLE_1)
	s_and_b32 s0, s0, vcc_lo
	s_and_b32 exec_lo, exec_lo, s0
	s_cbranch_execz .LBB61_50
; %bb.46:
	v_lshlrev_b64 v[3:4], 3, v[3:4]
	v_mul_f32_e64 v0, v2, -v10
	s_mov_b32 s0, 0
	s_delay_alu instid0(VALU_DEP_1) | instskip(NEXT) | instid1(VALU_DEP_3)
	v_fmac_f32_e32 v0, v9, v1
	v_add_co_u32 v3, vcc_lo, s2, v3
	s_delay_alu instid0(VALU_DEP_4)
	v_add_co_ci_u32_e32 v4, vcc_lo, s3, v4, vcc_lo
	global_load_b32 v6, v[3:4], off
.LBB61_47:                              ; =>This Inner Loop Header: Depth=1
	s_waitcnt vmcnt(0)
	v_add_f32_e32 v5, v6, v0
	global_atomic_cmpswap_b32 v5, v[3:4], v[5:6], off glc
	s_waitcnt vmcnt(0)
	v_cmp_eq_u32_e32 vcc_lo, v5, v6
	v_mov_b32_e32 v6, v5
	s_or_b32 s0, vcc_lo, s0
	s_delay_alu instid0(SALU_CYCLE_1)
	s_and_not1_b32 exec_lo, exec_lo, s0
	s_cbranch_execnz .LBB61_47
; %bb.48:
	s_or_b32 exec_lo, exec_lo, s0
	global_load_b32 v6, v[3:4], off offset:4
	v_mul_f32_e32 v0, v9, v2
	s_mov_b32 s0, 0
	s_delay_alu instid0(VALU_DEP_1)
	v_fmac_f32_e32 v0, v10, v1
.LBB61_49:                              ; =>This Inner Loop Header: Depth=1
	s_waitcnt vmcnt(0)
	s_delay_alu instid0(VALU_DEP_1)
	v_add_f32_e32 v5, v6, v0
	global_atomic_cmpswap_b32 v1, v[3:4], v[5:6], off offset:4 glc
	s_waitcnt vmcnt(0)
	v_cmp_eq_u32_e32 vcc_lo, v1, v6
	v_mov_b32_e32 v6, v1
	s_or_b32 s0, vcc_lo, s0
	s_delay_alu instid0(SALU_CYCLE_1)
	s_and_not1_b32 exec_lo, exec_lo, s0
	s_cbranch_execnz .LBB61_49
.LBB61_50:
	s_endpgm
	.section	.rodata,"a",@progbits
	.p2align	6, 0x0
	.amdhsa_kernel _ZN9rocsparseL23coomvn_aos_atomic_loopsILj256ELj1Elf21rocsparse_complex_numIfES2_S2_EEvlNS_24const_host_device_scalarIT5_EEPKT1_PKT2_PKT3_PT4_21rocsparse_index_base_b
		.amdhsa_group_segment_fixed_size 4096
		.amdhsa_private_segment_fixed_size 0
		.amdhsa_kernarg_size 56
		.amdhsa_user_sgpr_count 15
		.amdhsa_user_sgpr_dispatch_ptr 0
		.amdhsa_user_sgpr_queue_ptr 0
		.amdhsa_user_sgpr_kernarg_segment_ptr 1
		.amdhsa_user_sgpr_dispatch_id 0
		.amdhsa_user_sgpr_private_segment_size 0
		.amdhsa_wavefront_size32 1
		.amdhsa_uses_dynamic_stack 0
		.amdhsa_enable_private_segment 0
		.amdhsa_system_sgpr_workgroup_id_x 1
		.amdhsa_system_sgpr_workgroup_id_y 0
		.amdhsa_system_sgpr_workgroup_id_z 0
		.amdhsa_system_sgpr_workgroup_info 0
		.amdhsa_system_vgpr_workitem_id 0
		.amdhsa_next_free_vgpr 15
		.amdhsa_next_free_sgpr 16
		.amdhsa_reserve_vcc 1
		.amdhsa_float_round_mode_32 0
		.amdhsa_float_round_mode_16_64 0
		.amdhsa_float_denorm_mode_32 3
		.amdhsa_float_denorm_mode_16_64 3
		.amdhsa_dx10_clamp 1
		.amdhsa_ieee_mode 1
		.amdhsa_fp16_overflow 0
		.amdhsa_workgroup_processor_mode 1
		.amdhsa_memory_ordered 1
		.amdhsa_forward_progress 0
		.amdhsa_shared_vgpr_count 0
		.amdhsa_exception_fp_ieee_invalid_op 0
		.amdhsa_exception_fp_denorm_src 0
		.amdhsa_exception_fp_ieee_div_zero 0
		.amdhsa_exception_fp_ieee_overflow 0
		.amdhsa_exception_fp_ieee_underflow 0
		.amdhsa_exception_fp_ieee_inexact 0
		.amdhsa_exception_int_div_zero 0
	.end_amdhsa_kernel
	.section	.text._ZN9rocsparseL23coomvn_aos_atomic_loopsILj256ELj1Elf21rocsparse_complex_numIfES2_S2_EEvlNS_24const_host_device_scalarIT5_EEPKT1_PKT2_PKT3_PT4_21rocsparse_index_base_b,"axG",@progbits,_ZN9rocsparseL23coomvn_aos_atomic_loopsILj256ELj1Elf21rocsparse_complex_numIfES2_S2_EEvlNS_24const_host_device_scalarIT5_EEPKT1_PKT2_PKT3_PT4_21rocsparse_index_base_b,comdat
.Lfunc_end61:
	.size	_ZN9rocsparseL23coomvn_aos_atomic_loopsILj256ELj1Elf21rocsparse_complex_numIfES2_S2_EEvlNS_24const_host_device_scalarIT5_EEPKT1_PKT2_PKT3_PT4_21rocsparse_index_base_b, .Lfunc_end61-_ZN9rocsparseL23coomvn_aos_atomic_loopsILj256ELj1Elf21rocsparse_complex_numIfES2_S2_EEvlNS_24const_host_device_scalarIT5_EEPKT1_PKT2_PKT3_PT4_21rocsparse_index_base_b
                                        ; -- End function
	.section	.AMDGPU.csdata,"",@progbits
; Kernel info:
; codeLenInByte = 1820
; NumSgprs: 18
; NumVgprs: 15
; ScratchSize: 0
; MemoryBound: 0
; FloatMode: 240
; IeeeMode: 1
; LDSByteSize: 4096 bytes/workgroup (compile time only)
; SGPRBlocks: 2
; VGPRBlocks: 1
; NumSGPRsForWavesPerEU: 18
; NumVGPRsForWavesPerEU: 15
; Occupancy: 16
; WaveLimiterHint : 1
; COMPUTE_PGM_RSRC2:SCRATCH_EN: 0
; COMPUTE_PGM_RSRC2:USER_SGPR: 15
; COMPUTE_PGM_RSRC2:TRAP_HANDLER: 0
; COMPUTE_PGM_RSRC2:TGID_X_EN: 1
; COMPUTE_PGM_RSRC2:TGID_Y_EN: 0
; COMPUTE_PGM_RSRC2:TGID_Z_EN: 0
; COMPUTE_PGM_RSRC2:TIDIG_COMP_CNT: 0
	.section	.text._ZN9rocsparseL17coomvt_aos_kernelILj1024Elf21rocsparse_complex_numIfES2_S2_EEv20rocsparse_operation_lNS_24const_host_device_scalarIT4_EEPKT0_PKT1_PKT2_PT3_21rocsparse_index_base_b,"axG",@progbits,_ZN9rocsparseL17coomvt_aos_kernelILj1024Elf21rocsparse_complex_numIfES2_S2_EEv20rocsparse_operation_lNS_24const_host_device_scalarIT4_EEPKT0_PKT1_PKT2_PT3_21rocsparse_index_base_b,comdat
	.globl	_ZN9rocsparseL17coomvt_aos_kernelILj1024Elf21rocsparse_complex_numIfES2_S2_EEv20rocsparse_operation_lNS_24const_host_device_scalarIT4_EEPKT0_PKT1_PKT2_PT3_21rocsparse_index_base_b ; -- Begin function _ZN9rocsparseL17coomvt_aos_kernelILj1024Elf21rocsparse_complex_numIfES2_S2_EEv20rocsparse_operation_lNS_24const_host_device_scalarIT4_EEPKT0_PKT1_PKT2_PT3_21rocsparse_index_base_b
	.p2align	8
	.type	_ZN9rocsparseL17coomvt_aos_kernelILj1024Elf21rocsparse_complex_numIfES2_S2_EEv20rocsparse_operation_lNS_24const_host_device_scalarIT4_EEPKT0_PKT1_PKT2_PT3_21rocsparse_index_base_b,@function
_ZN9rocsparseL17coomvt_aos_kernelILj1024Elf21rocsparse_complex_numIfES2_S2_EEv20rocsparse_operation_lNS_24const_host_device_scalarIT4_EEPKT0_PKT1_PKT2_PT3_21rocsparse_index_base_b: ; @_ZN9rocsparseL17coomvt_aos_kernelILj1024Elf21rocsparse_complex_numIfES2_S2_EEv20rocsparse_operation_lNS_24const_host_device_scalarIT4_EEPKT0_PKT1_PKT2_PT3_21rocsparse_index_base_b
; %bb.0:
	s_clause 0x2
	s_load_b64 s[8:9], s[0:1], 0x38
	s_load_b64 s[2:3], s[0:1], 0x10
	s_load_b128 s[4:7], s[0:1], 0x8
	s_waitcnt lgkmcnt(0)
	s_bitcmp1_b32 s9, 0
	v_mov_b32_e32 v4, s2
	s_cselect_b32 s9, -1, 0
	s_delay_alu instid0(SALU_CYCLE_1)
	s_and_b32 vcc_lo, exec_lo, s9
	s_xor_b32 s2, s9, -1
	s_cbranch_vccnz .LBB62_2
; %bb.1:
	v_dual_mov_b32 v1, s6 :: v_dual_mov_b32 v2, s7
	flat_load_b32 v4, v[1:2]
.LBB62_2:
	v_mov_b32_e32 v6, s3
	s_and_not1_b32 vcc_lo, exec_lo, s2
	s_cbranch_vccnz .LBB62_4
; %bb.3:
	v_dual_mov_b32 v1, s6 :: v_dual_mov_b32 v2, s7
	flat_load_b32 v6, v[1:2] offset:4
.LBB62_4:
	s_waitcnt vmcnt(0) lgkmcnt(0)
	v_cmp_neq_f32_e32 vcc_lo, 0, v4
	v_cmp_neq_f32_e64 s2, 0, v6
	s_delay_alu instid0(VALU_DEP_1) | instskip(NEXT) | instid1(SALU_CYCLE_1)
	s_or_b32 s2, vcc_lo, s2
	s_and_saveexec_b32 s3, s2
	s_cbranch_execz .LBB62_10
; %bb.5:
	s_load_b32 s2, s[0:1], 0x4c
	s_waitcnt lgkmcnt(0)
	s_and_b32 s2, s2, 0xffff
	s_delay_alu instid0(SALU_CYCLE_1) | instskip(SKIP_1) | instid1(VALU_DEP_1)
	v_mad_u64_u32 v[1:2], null, s15, s2, v[0:1]
	v_mov_b32_e32 v2, 0
	v_cmp_gt_i64_e32 vcc_lo, s[4:5], v[1:2]
	s_and_b32 exec_lo, exec_lo, vcc_lo
	s_cbranch_execz .LBB62_10
; %bb.6:
	s_load_b256 s[0:7], s[0:1], 0x18
	v_lshlrev_b64 v[7:8], 4, v[1:2]
	v_lshlrev_b64 v[0:1], 2, v[1:2]
	s_waitcnt lgkmcnt(0)
	s_delay_alu instid0(VALU_DEP_2) | instskip(NEXT) | instid1(VALU_DEP_3)
	v_add_co_u32 v7, vcc_lo, s0, v7
	v_add_co_ci_u32_e32 v8, vcc_lo, s1, v8, vcc_lo
	s_delay_alu instid0(VALU_DEP_3) | instskip(NEXT) | instid1(VALU_DEP_4)
	v_add_co_u32 v0, vcc_lo, s2, v0
	v_add_co_ci_u32_e32 v1, vcc_lo, s3, v1, vcc_lo
	global_load_b128 v[7:10], v[7:8], off
	s_mov_b32 s0, 0
	global_load_b32 v11, v[0:1], off
	s_waitcnt vmcnt(1)
	v_sub_co_u32 v2, vcc_lo, v7, s8
	v_subrev_co_ci_u32_e32 v3, vcc_lo, 0, v8, vcc_lo
	s_delay_alu instid0(VALU_DEP_1) | instskip(SKIP_2) | instid1(VALU_DEP_3)
	v_lshlrev_b64 v[0:1], 3, v[2:3]
	v_sub_co_u32 v2, vcc_lo, v9, s8
	v_subrev_co_ci_u32_e32 v3, vcc_lo, 0, v10, vcc_lo
	v_add_co_u32 v0, vcc_lo, s4, v0
	s_delay_alu instid0(VALU_DEP_4) | instskip(NEXT) | instid1(VALU_DEP_3)
	v_add_co_ci_u32_e32 v1, vcc_lo, s5, v1, vcc_lo
	v_lshlrev_b64 v[7:8], 3, v[2:3]
	global_load_b64 v[2:3], v[0:1], off
	v_add_co_u32 v0, vcc_lo, s6, v7
	v_add_co_ci_u32_e32 v1, vcc_lo, s7, v8, vcc_lo
	v_dual_mul_f32 v7, 0, v4 :: v_dual_mul_f32 v8, 0x80000000, v6
	global_load_b32 v5, v[0:1], off
	s_waitcnt vmcnt(2)
	v_fmac_f32_e32 v8, v4, v11
	v_fmac_f32_e32 v7, v6, v11
	s_waitcnt vmcnt(1)
	s_delay_alu instid0(VALU_DEP_1) | instskip(NEXT) | instid1(VALU_DEP_1)
	v_mul_f32_e64 v6, v3, -v7
	v_fmac_f32_e32 v6, v8, v2
.LBB62_7:                               ; =>This Inner Loop Header: Depth=1
	s_waitcnt vmcnt(0)
	s_delay_alu instid0(VALU_DEP_1)
	v_add_f32_e32 v4, v5, v6
	global_atomic_cmpswap_b32 v4, v[0:1], v[4:5], off glc
	s_waitcnt vmcnt(0)
	v_cmp_eq_u32_e32 vcc_lo, v4, v5
	v_mov_b32_e32 v5, v4
	s_or_b32 s0, vcc_lo, s0
	s_delay_alu instid0(SALU_CYCLE_1)
	s_and_not1_b32 exec_lo, exec_lo, s0
	s_cbranch_execnz .LBB62_7
; %bb.8:
	s_or_b32 exec_lo, exec_lo, s0
	global_load_b32 v4, v[0:1], off offset:4
	v_mul_f32_e32 v5, v8, v3
	s_mov_b32 s0, 0
	s_delay_alu instid0(VALU_DEP_1)
	v_fmac_f32_e32 v5, v7, v2
.LBB62_9:                               ; =>This Inner Loop Header: Depth=1
	s_waitcnt vmcnt(0)
	s_delay_alu instid0(VALU_DEP_1)
	v_add_f32_e32 v3, v4, v5
	global_atomic_cmpswap_b32 v2, v[0:1], v[3:4], off offset:4 glc
	s_waitcnt vmcnt(0)
	v_cmp_eq_u32_e32 vcc_lo, v2, v4
	v_mov_b32_e32 v4, v2
	s_or_b32 s0, vcc_lo, s0
	s_delay_alu instid0(SALU_CYCLE_1)
	s_and_not1_b32 exec_lo, exec_lo, s0
	s_cbranch_execnz .LBB62_9
.LBB62_10:
	s_endpgm
	.section	.rodata,"a",@progbits
	.p2align	6, 0x0
	.amdhsa_kernel _ZN9rocsparseL17coomvt_aos_kernelILj1024Elf21rocsparse_complex_numIfES2_S2_EEv20rocsparse_operation_lNS_24const_host_device_scalarIT4_EEPKT0_PKT1_PKT2_PT3_21rocsparse_index_base_b
		.amdhsa_group_segment_fixed_size 0
		.amdhsa_private_segment_fixed_size 0
		.amdhsa_kernarg_size 320
		.amdhsa_user_sgpr_count 15
		.amdhsa_user_sgpr_dispatch_ptr 0
		.amdhsa_user_sgpr_queue_ptr 0
		.amdhsa_user_sgpr_kernarg_segment_ptr 1
		.amdhsa_user_sgpr_dispatch_id 0
		.amdhsa_user_sgpr_private_segment_size 0
		.amdhsa_wavefront_size32 1
		.amdhsa_uses_dynamic_stack 0
		.amdhsa_enable_private_segment 0
		.amdhsa_system_sgpr_workgroup_id_x 1
		.amdhsa_system_sgpr_workgroup_id_y 0
		.amdhsa_system_sgpr_workgroup_id_z 0
		.amdhsa_system_sgpr_workgroup_info 0
		.amdhsa_system_vgpr_workitem_id 0
		.amdhsa_next_free_vgpr 12
		.amdhsa_next_free_sgpr 16
		.amdhsa_reserve_vcc 1
		.amdhsa_float_round_mode_32 0
		.amdhsa_float_round_mode_16_64 0
		.amdhsa_float_denorm_mode_32 3
		.amdhsa_float_denorm_mode_16_64 3
		.amdhsa_dx10_clamp 1
		.amdhsa_ieee_mode 1
		.amdhsa_fp16_overflow 0
		.amdhsa_workgroup_processor_mode 1
		.amdhsa_memory_ordered 1
		.amdhsa_forward_progress 0
		.amdhsa_shared_vgpr_count 0
		.amdhsa_exception_fp_ieee_invalid_op 0
		.amdhsa_exception_fp_denorm_src 0
		.amdhsa_exception_fp_ieee_div_zero 0
		.amdhsa_exception_fp_ieee_overflow 0
		.amdhsa_exception_fp_ieee_underflow 0
		.amdhsa_exception_fp_ieee_inexact 0
		.amdhsa_exception_int_div_zero 0
	.end_amdhsa_kernel
	.section	.text._ZN9rocsparseL17coomvt_aos_kernelILj1024Elf21rocsparse_complex_numIfES2_S2_EEv20rocsparse_operation_lNS_24const_host_device_scalarIT4_EEPKT0_PKT1_PKT2_PT3_21rocsparse_index_base_b,"axG",@progbits,_ZN9rocsparseL17coomvt_aos_kernelILj1024Elf21rocsparse_complex_numIfES2_S2_EEv20rocsparse_operation_lNS_24const_host_device_scalarIT4_EEPKT0_PKT1_PKT2_PT3_21rocsparse_index_base_b,comdat
.Lfunc_end62:
	.size	_ZN9rocsparseL17coomvt_aos_kernelILj1024Elf21rocsparse_complex_numIfES2_S2_EEv20rocsparse_operation_lNS_24const_host_device_scalarIT4_EEPKT0_PKT1_PKT2_PT3_21rocsparse_index_base_b, .Lfunc_end62-_ZN9rocsparseL17coomvt_aos_kernelILj1024Elf21rocsparse_complex_numIfES2_S2_EEv20rocsparse_operation_lNS_24const_host_device_scalarIT4_EEPKT0_PKT1_PKT2_PT3_21rocsparse_index_base_b
                                        ; -- End function
	.section	.AMDGPU.csdata,"",@progbits
; Kernel info:
; codeLenInByte = 528
; NumSgprs: 18
; NumVgprs: 12
; ScratchSize: 0
; MemoryBound: 0
; FloatMode: 240
; IeeeMode: 1
; LDSByteSize: 0 bytes/workgroup (compile time only)
; SGPRBlocks: 2
; VGPRBlocks: 1
; NumSGPRsForWavesPerEU: 18
; NumVGPRsForWavesPerEU: 12
; Occupancy: 16
; WaveLimiterHint : 1
; COMPUTE_PGM_RSRC2:SCRATCH_EN: 0
; COMPUTE_PGM_RSRC2:USER_SGPR: 15
; COMPUTE_PGM_RSRC2:TRAP_HANDLER: 0
; COMPUTE_PGM_RSRC2:TGID_X_EN: 1
; COMPUTE_PGM_RSRC2:TGID_Y_EN: 0
; COMPUTE_PGM_RSRC2:TGID_Z_EN: 0
; COMPUTE_PGM_RSRC2:TIDIG_COMP_CNT: 0
	.section	.text._ZN9rocsparseL26coomvn_aos_segmented_loopsILj256Elf21rocsparse_complex_numIfES2_S2_EEvlT0_NS_24const_host_device_scalarIT4_EEPKS3_PKT1_PKT2_PT3_PS3_PS5_21rocsparse_index_base_b,"axG",@progbits,_ZN9rocsparseL26coomvn_aos_segmented_loopsILj256Elf21rocsparse_complex_numIfES2_S2_EEvlT0_NS_24const_host_device_scalarIT4_EEPKS3_PKT1_PKT2_PT3_PS3_PS5_21rocsparse_index_base_b,comdat
	.globl	_ZN9rocsparseL26coomvn_aos_segmented_loopsILj256Elf21rocsparse_complex_numIfES2_S2_EEvlT0_NS_24const_host_device_scalarIT4_EEPKS3_PKT1_PKT2_PT3_PS3_PS5_21rocsparse_index_base_b ; -- Begin function _ZN9rocsparseL26coomvn_aos_segmented_loopsILj256Elf21rocsparse_complex_numIfES2_S2_EEvlT0_NS_24const_host_device_scalarIT4_EEPKS3_PKT1_PKT2_PT3_PS3_PS5_21rocsparse_index_base_b
	.p2align	8
	.type	_ZN9rocsparseL26coomvn_aos_segmented_loopsILj256Elf21rocsparse_complex_numIfES2_S2_EEvlT0_NS_24const_host_device_scalarIT4_EEPKS3_PKT1_PKT2_PT3_PS3_PS5_21rocsparse_index_base_b,@function
_ZN9rocsparseL26coomvn_aos_segmented_loopsILj256Elf21rocsparse_complex_numIfES2_S2_EEvlT0_NS_24const_host_device_scalarIT4_EEPKS3_PKT1_PKT2_PT3_PS3_PS5_21rocsparse_index_base_b: ; @_ZN9rocsparseL26coomvn_aos_segmented_loopsILj256Elf21rocsparse_complex_numIfES2_S2_EEvlT0_NS_24const_host_device_scalarIT4_EEPKS3_PKT1_PKT2_PT3_PS3_PS5_21rocsparse_index_base_b
; %bb.0:
	s_clause 0x1
	s_load_b64 s[26:27], s[0:1], 0x48
	s_load_b64 s[2:3], s[0:1], 0x10
	s_mov_b32 s24, s15
	s_waitcnt lgkmcnt(0)
	s_bitcmp1_b32 s27, 0
	v_mov_b32_e32 v13, s2
	s_cselect_b32 s4, -1, 0
	s_delay_alu instid0(SALU_CYCLE_1)
	s_and_b32 vcc_lo, exec_lo, s4
	s_xor_b32 s4, s4, -1
	s_cbranch_vccnz .LBB63_2
; %bb.1:
	v_dual_mov_b32 v1, s2 :: v_dual_mov_b32 v2, s3
	flat_load_b32 v13, v[1:2]
.LBB63_2:
	v_mov_b32_e32 v14, s3
	s_and_not1_b32 vcc_lo, exec_lo, s4
	s_cbranch_vccnz .LBB63_4
; %bb.3:
	v_dual_mov_b32 v1, s2 :: v_dual_mov_b32 v2, s3
	flat_load_b32 v14, v[1:2] offset:4
.LBB63_4:
	s_waitcnt vmcnt(0) lgkmcnt(0)
	v_cmp_neq_f32_e32 vcc_lo, 0, v13
	v_cmp_neq_f32_e64 s2, 0, v14
	s_mov_b32 s25, 0
	s_delay_alu instid0(VALU_DEP_1) | instskip(NEXT) | instid1(SALU_CYCLE_1)
	s_or_b32 s2, vcc_lo, s2
	s_and_saveexec_b32 s3, s2
	s_cbranch_execz .LBB63_91
; %bb.5:
	s_clause 0x2
	s_load_b128 s[16:19], s[0:1], 0x0
	s_load_b128 s[20:23], s[0:1], 0x18
	s_load_b64 s[34:35], s[0:1], 0x28
	v_mov_b32_e32 v1, 0
	v_mov_b32_e32 v3, -1
	v_mov_b32_e32 v4, -1
	s_delay_alu instid0(VALU_DEP_3)
	v_mov_b32_e32 v2, v1
	s_waitcnt lgkmcnt(0)
	s_mul_i32 s3, s24, s19
	s_mul_hi_u32 s4, s24, s18
	s_mul_i32 s2, s24, s18
	s_add_i32 s3, s4, s3
	s_delay_alu instid0(SALU_CYCLE_1) | instskip(NEXT) | instid1(SALU_CYCLE_1)
	s_lshl_b64 s[2:3], s[2:3], 8
	v_mov_b32_e32 v6, s3
	v_or_b32_e32 v5, s2, v0
	s_mov_b32 s2, exec_lo
	s_delay_alu instid0(VALU_DEP_1)
	v_cmpx_gt_i64_e64 s[16:17], v[5:6]
	s_cbranch_execz .LBB63_7
; %bb.6:
	v_lshlrev_b64 v[1:2], 4, v[5:6]
	s_ashr_i32 s27, s26, 31
	v_lshlrev_b64 v[3:4], 2, v[5:6]
	s_lshl_b64 s[4:5], s[26:27], 3
	s_delay_alu instid0(VALU_DEP_2) | instskip(NEXT) | instid1(VALU_DEP_3)
	v_add_co_u32 v1, vcc_lo, s20, v1
	v_add_co_ci_u32_e32 v2, vcc_lo, s21, v2, vcc_lo
	global_load_b128 v[7:10], v[1:2], off slc dlc
	s_waitcnt vmcnt(0)
	v_lshlrev_b64 v[1:2], 3, v[9:10]
	s_delay_alu instid0(VALU_DEP_1) | instskip(NEXT) | instid1(VALU_DEP_2)
	v_add_co_u32 v1, vcc_lo, s34, v1
	v_add_co_ci_u32_e32 v2, vcc_lo, s35, v2, vcc_lo
	s_delay_alu instid0(VALU_DEP_2) | instskip(NEXT) | instid1(VALU_DEP_2)
	v_sub_co_u32 v1, vcc_lo, v1, s4
	v_subrev_co_ci_u32_e32 v2, vcc_lo, s5, v2, vcc_lo
	v_add_co_u32 v3, vcc_lo, s22, v3
	v_add_co_ci_u32_e32 v4, vcc_lo, s23, v4, vcc_lo
	global_load_b64 v[9:10], v[1:2], off
	global_load_b32 v11, v[3:4], off slc dlc
	v_sub_co_u32 v3, vcc_lo, v7, s26
	v_subrev_co_ci_u32_e32 v4, vcc_lo, 0, v8, vcc_lo
	s_waitcnt vmcnt(0)
	v_mul_f32_e32 v2, v11, v10
	s_delay_alu instid0(VALU_DEP_1) | instskip(NEXT) | instid1(VALU_DEP_1)
	v_dual_mul_f32 v1, 0x80000000, v10 :: v_dual_fmac_f32 v2, 0, v9
	v_fmac_f32_e32 v1, v11, v9
.LBB63_7:
	s_or_b32 exec_lo, exec_lo, s2
	v_lshlrev_b32_e32 v15, 3, v0
	v_cmp_eq_u32_e64 s2, 0, v0
	v_cmp_ne_u32_e64 s3, 0, v0
	s_delay_alu instid0(VALU_DEP_3)
	v_or_b32_e32 v16, 0x800, v15
	v_add_nc_u32_e32 v17, -8, v15
	ds_store_2addr_stride64_b64 v15, v[3:4], v[1:2] offset1:4
	s_waitcnt lgkmcnt(0)
	s_barrier
	buffer_gl0_inv
	s_and_saveexec_b32 s4, s3
	s_cbranch_execz .LBB63_11
; %bb.8:
	ds_load_b64 v[7:8], v17
	s_mov_b32 s5, exec_lo
	s_waitcnt lgkmcnt(0)
	v_cmpx_eq_u64_e64 v[3:4], v[7:8]
	s_cbranch_execz .LBB63_10
; %bb.9:
	v_add_nc_u32_e32 v7, -8, v16
	ds_load_b64 v[7:8], v7
	s_waitcnt lgkmcnt(0)
	v_dual_add_f32 v1, v1, v7 :: v_dual_add_f32 v2, v2, v8
.LBB63_10:
	s_or_b32 exec_lo, exec_lo, s5
.LBB63_11:
	s_delay_alu instid0(SALU_CYCLE_1)
	s_or_b32 exec_lo, exec_lo, s4
	v_cmp_lt_u32_e64 s4, 1, v0
	v_add_nc_u32_e32 v18, -16, v15
	s_barrier
	buffer_gl0_inv
	ds_store_b64 v16, v[1:2]
	s_waitcnt lgkmcnt(0)
	s_barrier
	buffer_gl0_inv
	s_and_saveexec_b32 s5, s4
	s_cbranch_execz .LBB63_15
; %bb.12:
	ds_load_b64 v[7:8], v18
	s_mov_b32 s6, exec_lo
	s_waitcnt lgkmcnt(0)
	v_cmpx_eq_u64_e64 v[3:4], v[7:8]
	s_cbranch_execz .LBB63_14
; %bb.13:
	v_add_nc_u32_e32 v7, -16, v16
	ds_load_b64 v[7:8], v7
	s_waitcnt lgkmcnt(0)
	v_dual_add_f32 v1, v1, v7 :: v_dual_add_f32 v2, v2, v8
.LBB63_14:
	s_or_b32 exec_lo, exec_lo, s6
.LBB63_15:
	s_delay_alu instid0(SALU_CYCLE_1)
	s_or_b32 exec_lo, exec_lo, s5
	v_cmp_lt_u32_e64 s5, 3, v0
	v_subrev_nc_u32_e32 v19, 32, v15
	s_barrier
	buffer_gl0_inv
	ds_store_b64 v16, v[1:2]
	s_waitcnt lgkmcnt(0)
	s_barrier
	buffer_gl0_inv
	s_and_saveexec_b32 s6, s5
	s_cbranch_execz .LBB63_19
; %bb.16:
	ds_load_b64 v[7:8], v19
	s_mov_b32 s7, exec_lo
	s_waitcnt lgkmcnt(0)
	v_cmpx_eq_u64_e64 v[3:4], v[7:8]
	s_cbranch_execz .LBB63_18
; %bb.17:
	v_subrev_nc_u32_e32 v7, 32, v16
	ds_load_b64 v[7:8], v7
	s_waitcnt lgkmcnt(0)
	v_dual_add_f32 v1, v1, v7 :: v_dual_add_f32 v2, v2, v8
.LBB63_18:
	s_or_b32 exec_lo, exec_lo, s7
.LBB63_19:
	s_delay_alu instid0(SALU_CYCLE_1)
	s_or_b32 exec_lo, exec_lo, s6
	v_cmp_lt_u32_e64 s6, 7, v0
	v_subrev_nc_u32_e32 v20, 64, v15
	s_barrier
	buffer_gl0_inv
	ds_store_b64 v16, v[1:2]
	s_waitcnt lgkmcnt(0)
	s_barrier
	buffer_gl0_inv
	s_and_saveexec_b32 s7, s6
	s_cbranch_execz .LBB63_23
; %bb.20:
	ds_load_b64 v[7:8], v20
	s_mov_b32 s8, exec_lo
	s_waitcnt lgkmcnt(0)
	v_cmpx_eq_u64_e64 v[3:4], v[7:8]
	s_cbranch_execz .LBB63_22
; %bb.21:
	v_subrev_nc_u32_e32 v7, 64, v16
	ds_load_b64 v[7:8], v7
	s_waitcnt lgkmcnt(0)
	v_dual_add_f32 v1, v1, v7 :: v_dual_add_f32 v2, v2, v8
.LBB63_22:
	s_or_b32 exec_lo, exec_lo, s8
.LBB63_23:
	s_delay_alu instid0(SALU_CYCLE_1)
	s_or_b32 exec_lo, exec_lo, s7
	v_cmp_lt_u32_e64 s7, 15, v0
	v_add_nc_u32_e32 v21, 0xffffff80, v15
	s_barrier
	buffer_gl0_inv
	ds_store_b64 v16, v[1:2]
	s_waitcnt lgkmcnt(0)
	s_barrier
	buffer_gl0_inv
	s_and_saveexec_b32 s8, s7
	s_cbranch_execz .LBB63_27
; %bb.24:
	ds_load_b64 v[7:8], v21
	s_mov_b32 s9, exec_lo
	s_waitcnt lgkmcnt(0)
	v_cmpx_eq_u64_e64 v[3:4], v[7:8]
	s_cbranch_execz .LBB63_26
; %bb.25:
	v_add_nc_u32_e32 v7, 0xffffff80, v16
	ds_load_b64 v[7:8], v7
	s_waitcnt lgkmcnt(0)
	v_dual_add_f32 v1, v1, v7 :: v_dual_add_f32 v2, v2, v8
.LBB63_26:
	s_or_b32 exec_lo, exec_lo, s9
.LBB63_27:
	s_delay_alu instid0(SALU_CYCLE_1)
	s_or_b32 exec_lo, exec_lo, s8
	v_cmp_lt_u32_e64 s8, 31, v0
	v_add_nc_u32_e32 v22, 0xffffff00, v15
	s_barrier
	buffer_gl0_inv
	ds_store_b64 v16, v[1:2]
	s_waitcnt lgkmcnt(0)
	s_barrier
	buffer_gl0_inv
	s_and_saveexec_b32 s9, s8
	s_cbranch_execz .LBB63_31
; %bb.28:
	ds_load_b64 v[7:8], v22
	s_mov_b32 s10, exec_lo
	s_waitcnt lgkmcnt(0)
	v_cmpx_eq_u64_e64 v[3:4], v[7:8]
	s_cbranch_execz .LBB63_30
; %bb.29:
	v_add_nc_u32_e32 v7, 0xffffff00, v16
	ds_load_b64 v[7:8], v7
	s_waitcnt lgkmcnt(0)
	v_dual_add_f32 v1, v1, v7 :: v_dual_add_f32 v2, v2, v8
.LBB63_30:
	s_or_b32 exec_lo, exec_lo, s10
.LBB63_31:
	;; [unrolled: 26-line block ×3, first 2 shown]
	s_delay_alu instid0(SALU_CYCLE_1)
	s_or_b32 exec_lo, exec_lo, s10
	s_load_b64 s[28:29], s[0:1], 0x30
	v_cmp_lt_u32_e64 s10, 0x7f, v0
	v_add_nc_u32_e32 v24, 0xfffffc00, v15
	s_waitcnt lgkmcnt(0)
	s_barrier
	buffer_gl0_inv
	ds_store_b64 v16, v[1:2]
	s_waitcnt lgkmcnt(0)
	s_barrier
	buffer_gl0_inv
	s_and_saveexec_b32 s11, s10
	s_cbranch_execz .LBB63_39
; %bb.36:
	ds_load_b64 v[7:8], v24
	s_mov_b32 s12, exec_lo
	s_waitcnt lgkmcnt(0)
	v_cmpx_eq_u64_e64 v[3:4], v[7:8]
	s_cbranch_execz .LBB63_38
; %bb.37:
	v_add_nc_u32_e32 v7, 0xfffffc00, v16
	ds_load_b64 v[7:8], v7
	s_waitcnt lgkmcnt(0)
	v_dual_add_f32 v1, v1, v7 :: v_dual_add_f32 v2, v2, v8
.LBB63_38:
	s_or_b32 exec_lo, exec_lo, s12
.LBB63_39:
	s_delay_alu instid0(SALU_CYCLE_1)
	s_or_b32 exec_lo, exec_lo, s11
	v_cmp_gt_u32_e64 s11, 0xff, v0
	s_barrier
	buffer_gl0_inv
	ds_store_b64 v16, v[1:2]
	s_waitcnt lgkmcnt(0)
	s_barrier
	buffer_gl0_inv
	s_and_saveexec_b32 s13, s11
	s_cbranch_execz .LBB63_42
; %bb.40:
	ds_load_b64 v[7:8], v15 offset:8
	v_cmp_lt_i64_e64 s12, -1, v[3:4]
	s_waitcnt lgkmcnt(0)
	v_cmp_ne_u64_e32 vcc_lo, v[3:4], v[7:8]
	s_delay_alu instid0(VALU_DEP_2) | instskip(NEXT) | instid1(SALU_CYCLE_1)
	s_and_b32 s12, s12, vcc_lo
	s_and_b32 exec_lo, exec_lo, s12
	s_cbranch_execz .LBB63_42
; %bb.41:
	v_lshlrev_b64 v[7:8], 3, v[3:4]
	s_delay_alu instid0(VALU_DEP_1) | instskip(NEXT) | instid1(VALU_DEP_2)
	v_add_co_u32 v7, vcc_lo, s28, v7
	v_add_co_ci_u32_e32 v8, vcc_lo, s29, v8, vcc_lo
	global_load_b64 v[9:10], v[7:8], off
	s_waitcnt vmcnt(0)
	v_fma_f32 v9, v13, v1, v9
	v_fmac_f32_e32 v10, v14, v1
	s_delay_alu instid0(VALU_DEP_2) | instskip(NEXT) | instid1(VALU_DEP_2)
	v_fma_f32 v9, -v14, v2, v9
	v_fmac_f32_e32 v10, v13, v2
	global_store_b64 v[7:8], v[9:10], off
.LBB63_42:
	s_or_b32 exec_lo, exec_lo, s13
	s_load_b128 s[12:15], s[0:1], 0x38
	v_cmp_lt_i64_e64 s0, s[18:19], 2
	s_delay_alu instid0(VALU_DEP_1)
	s_and_b32 vcc_lo, exec_lo, s0
	s_cbranch_vccnz .LBB63_89
; %bb.43:
	s_add_u32 s30, s18, -1
	s_addc_u32 s31, s19, -1
	s_ashr_i32 s27, s26, 31
	s_mul_i32 s0, s19, s24
	s_lshl_b64 s[36:37], s[26:27], 3
	s_mul_hi_u32 s19, s18, s24
	s_sub_u32 s1, s34, s36
	s_subb_u32 s27, s35, s37
	s_add_i32 s19, s19, s0
	s_mul_i32 s18, s18, s24
	v_lshlrev_b32_e32 v1, 2, v0
	s_lshl_b64 s[34:35], s[18:19], 10
	v_lshlrev_b32_e32 v2, 4, v0
	s_add_u32 s0, s22, s34
	s_addc_u32 s22, s23, s35
	s_lshl_b64 s[18:19], s[18:19], 12
	v_add_co_u32 v1, s0, s0, v1
	s_delay_alu instid0(VALU_DEP_1) | instskip(SKIP_3) | instid1(VALU_DEP_1)
	v_add_co_ci_u32_e64 v3, null, s22, 0, s0
	s_add_u32 s0, s20, s18
	s_addc_u32 s18, s21, s19
	v_add_co_u32 v2, s0, s0, v2
	v_add_co_ci_u32_e64 v4, null, s18, 0, s0
	v_add_co_u32 v7, vcc_lo, 0x400, v1
	v_add_co_ci_u32_e32 v8, vcc_lo, 0, v3, vcc_lo
	s_delay_alu instid0(VALU_DEP_4) | instskip(NEXT) | instid1(VALU_DEP_4)
	v_add_co_u32 v9, vcc_lo, 0x1008, v2
	v_add_co_ci_u32_e32 v10, vcc_lo, 0, v4, vcc_lo
	v_add_co_u32 v5, vcc_lo, 0x100, v5
	v_add_nc_u32_e32 v25, -8, v16
	v_dual_mov_b32 v33, 0 :: v_dual_add_nc_u32 v26, -16, v16
	v_subrev_nc_u32_e32 v27, 32, v16
	v_subrev_nc_u32_e32 v28, 64, v16
	v_add_nc_u32_e32 v29, 0xffffff80, v16
	v_add_nc_u32_e32 v30, 0xffffff00, v16
	;; [unrolled: 1-line block ×4, first 2 shown]
	v_add_co_ci_u32_e32 v6, vcc_lo, 0, v6, vcc_lo
	s_mov_b64 s[18:19], 0
	s_branch .LBB63_45
.LBB63_44:                              ;   in Loop: Header=BB63_45 Depth=1
	s_or_b32 exec_lo, exec_lo, s20
	v_add_co_u32 v7, vcc_lo, 0x400, v7
	s_add_u32 s18, s18, 1
	v_add_co_ci_u32_e32 v8, vcc_lo, 0, v8, vcc_lo
	s_addc_u32 s19, s19, 0
	v_add_co_u32 v9, vcc_lo, 0x1000, v9
	v_cmp_le_u64_e64 s0, s[30:31], s[18:19]
	v_add_co_ci_u32_e32 v10, vcc_lo, 0, v10, vcc_lo
	v_add_co_u32 v5, vcc_lo, 0x100, v5
	v_add_co_ci_u32_e32 v6, vcc_lo, 0, v6, vcc_lo
	s_delay_alu instid0(VALU_DEP_4)
	s_and_b32 vcc_lo, exec_lo, s0
	s_cbranch_vccnz .LBB63_89
.LBB63_45:                              ; =>This Inner Loop Header: Depth=1
	v_dual_mov_b32 v3, -1 :: v_dual_mov_b32 v2, 0
	v_dual_mov_b32 v4, -1 :: v_dual_mov_b32 v1, 0
	s_mov_b32 s0, exec_lo
	v_cmpx_gt_i64_e64 s[16:17], v[5:6]
	s_cbranch_execz .LBB63_47
; %bb.46:                               ;   in Loop: Header=BB63_45 Depth=1
	global_load_b128 v[34:37], v[9:10], off offset:-8 slc dlc
	s_waitcnt vmcnt(0)
	v_lshlrev_b64 v[1:2], 3, v[36:37]
	s_delay_alu instid0(VALU_DEP_1) | instskip(NEXT) | instid1(VALU_DEP_2)
	v_add_co_u32 v1, vcc_lo, s1, v1
	v_add_co_ci_u32_e32 v2, vcc_lo, s27, v2, vcc_lo
	v_sub_co_u32 v3, vcc_lo, v34, s26
	v_subrev_co_ci_u32_e32 v4, vcc_lo, 0, v35, vcc_lo
	global_load_b64 v[11:12], v[1:2], off
	global_load_b32 v36, v[7:8], off slc dlc
	s_waitcnt vmcnt(0)
	v_mul_f32_e32 v2, v36, v12
	s_delay_alu instid0(VALU_DEP_1) | instskip(NEXT) | instid1(VALU_DEP_1)
	v_dual_mul_f32 v1, 0x80000000, v12 :: v_dual_fmac_f32 v2, 0, v11
	v_fmac_f32_e32 v1, v36, v11
.LBB63_47:                              ;   in Loop: Header=BB63_45 Depth=1
	s_or_b32 exec_lo, exec_lo, s0
	s_and_saveexec_b32 s0, s2
	s_cbranch_execz .LBB63_54
; %bb.48:                               ;   in Loop: Header=BB63_45 Depth=1
	ds_load_b64 v[11:12], v33 offset:2040
	s_mov_b32 s20, exec_lo
	s_waitcnt lgkmcnt(0)
	v_cmpx_ne_u64_e64 v[3:4], v[11:12]
	s_xor_b32 s20, exec_lo, s20
	s_cbranch_execz .LBB63_51
; %bb.49:                               ;   in Loop: Header=BB63_45 Depth=1
	v_cmp_gt_i64_e32 vcc_lo, 0, v[11:12]
	s_cbranch_vccnz .LBB63_51
; %bb.50:                               ;   in Loop: Header=BB63_45 Depth=1
	v_lshlrev_b64 v[11:12], 3, v[11:12]
	ds_load_b64 v[36:37], v33 offset:4088
	v_add_co_u32 v11, vcc_lo, s28, v11
	v_add_co_ci_u32_e32 v12, vcc_lo, s29, v12, vcc_lo
	global_load_b64 v[34:35], v[11:12], off
	s_waitcnt vmcnt(0) lgkmcnt(0)
	v_fma_f32 v34, v13, v36, v34
	v_fmac_f32_e32 v35, v14, v36
	s_delay_alu instid0(VALU_DEP_2) | instskip(NEXT) | instid1(VALU_DEP_2)
	v_fma_f32 v34, -v14, v37, v34
	v_fmac_f32_e32 v35, v13, v37
	global_store_b64 v[11:12], v[34:35], off
.LBB63_51:                              ;   in Loop: Header=BB63_45 Depth=1
	s_and_not1_saveexec_b32 s20, s20
	s_cbranch_execz .LBB63_53
; %bb.52:                               ;   in Loop: Header=BB63_45 Depth=1
	ds_load_b64 v[11:12], v33 offset:4088
	s_waitcnt lgkmcnt(0)
	v_dual_add_f32 v1, v1, v11 :: v_dual_add_f32 v2, v2, v12
.LBB63_53:                              ;   in Loop: Header=BB63_45 Depth=1
	s_or_b32 exec_lo, exec_lo, s20
.LBB63_54:                              ;   in Loop: Header=BB63_45 Depth=1
	s_delay_alu instid0(SALU_CYCLE_1)
	s_or_b32 exec_lo, exec_lo, s0
	s_waitcnt lgkmcnt(0)
	s_waitcnt_vscnt null, 0x0
	s_barrier
	buffer_gl0_inv
	ds_store_b64 v15, v[3:4]
	ds_store_b64 v16, v[1:2]
	s_waitcnt lgkmcnt(0)
	s_barrier
	buffer_gl0_inv
	s_and_saveexec_b32 s0, s3
	s_cbranch_execz .LBB63_58
; %bb.55:                               ;   in Loop: Header=BB63_45 Depth=1
	ds_load_b64 v[11:12], v17
	s_mov_b32 s20, exec_lo
	s_waitcnt lgkmcnt(0)
	v_cmpx_eq_u64_e64 v[3:4], v[11:12]
	s_cbranch_execz .LBB63_57
; %bb.56:                               ;   in Loop: Header=BB63_45 Depth=1
	ds_load_b64 v[11:12], v25
	s_waitcnt lgkmcnt(0)
	v_dual_add_f32 v1, v1, v11 :: v_dual_add_f32 v2, v2, v12
.LBB63_57:                              ;   in Loop: Header=BB63_45 Depth=1
	s_or_b32 exec_lo, exec_lo, s20
.LBB63_58:                              ;   in Loop: Header=BB63_45 Depth=1
	s_delay_alu instid0(SALU_CYCLE_1)
	s_or_b32 exec_lo, exec_lo, s0
	s_barrier
	buffer_gl0_inv
	ds_store_b64 v16, v[1:2]
	s_waitcnt lgkmcnt(0)
	s_barrier
	buffer_gl0_inv
	s_and_saveexec_b32 s0, s4
	s_cbranch_execz .LBB63_62
; %bb.59:                               ;   in Loop: Header=BB63_45 Depth=1
	ds_load_b64 v[11:12], v18
	s_mov_b32 s20, exec_lo
	s_waitcnt lgkmcnt(0)
	v_cmpx_eq_u64_e64 v[3:4], v[11:12]
	s_cbranch_execz .LBB63_61
; %bb.60:                               ;   in Loop: Header=BB63_45 Depth=1
	ds_load_b64 v[11:12], v26
	s_waitcnt lgkmcnt(0)
	v_dual_add_f32 v1, v1, v11 :: v_dual_add_f32 v2, v2, v12
.LBB63_61:                              ;   in Loop: Header=BB63_45 Depth=1
	s_or_b32 exec_lo, exec_lo, s20
.LBB63_62:                              ;   in Loop: Header=BB63_45 Depth=1
	s_delay_alu instid0(SALU_CYCLE_1)
	s_or_b32 exec_lo, exec_lo, s0
	s_barrier
	buffer_gl0_inv
	;; [unrolled: 23-line block ×8, first 2 shown]
	ds_store_b64 v16, v[1:2]
	s_waitcnt lgkmcnt(0)
	s_barrier
	buffer_gl0_inv
	s_and_saveexec_b32 s20, s11
	s_cbranch_execz .LBB63_44
; %bb.87:                               ;   in Loop: Header=BB63_45 Depth=1
	ds_load_b64 v[11:12], v15 offset:8
	v_cmp_lt_i64_e64 s0, -1, v[3:4]
	s_waitcnt lgkmcnt(0)
	v_cmp_ne_u64_e32 vcc_lo, v[3:4], v[11:12]
	s_delay_alu instid0(VALU_DEP_2) | instskip(NEXT) | instid1(SALU_CYCLE_1)
	s_and_b32 s0, s0, vcc_lo
	s_and_b32 exec_lo, exec_lo, s0
	s_cbranch_execz .LBB63_44
; %bb.88:                               ;   in Loop: Header=BB63_45 Depth=1
	v_lshlrev_b64 v[11:12], 3, v[3:4]
	s_delay_alu instid0(VALU_DEP_1) | instskip(NEXT) | instid1(VALU_DEP_2)
	v_add_co_u32 v11, vcc_lo, s28, v11
	v_add_co_ci_u32_e32 v12, vcc_lo, s29, v12, vcc_lo
	global_load_b64 v[34:35], v[11:12], off
	s_waitcnt vmcnt(0)
	v_fma_f32 v34, v13, v1, v34
	v_fmac_f32_e32 v35, v14, v1
	s_delay_alu instid0(VALU_DEP_2) | instskip(NEXT) | instid1(VALU_DEP_2)
	v_fma_f32 v34, -v14, v2, v34
	v_fmac_f32_e32 v35, v13, v2
	global_store_b64 v[11:12], v[34:35], off
	s_branch .LBB63_44
.LBB63_89:
	v_cmp_eq_u32_e32 vcc_lo, 0xff, v0
	s_and_b32 exec_lo, exec_lo, vcc_lo
	s_cbranch_execz .LBB63_91
; %bb.90:
	v_mul_f32_e64 v5, v2, -v14
	v_mul_f32_e32 v6, v13, v2
	s_lshl_b64 s[0:1], s[24:25], 3
	v_mov_b32_e32 v0, 0
	s_waitcnt lgkmcnt(0)
	s_add_u32 s2, s12, s0
	v_fmac_f32_e32 v5, v13, v1
	v_fmac_f32_e32 v6, v14, v1
	s_addc_u32 s3, s13, s1
	s_add_u32 s0, s14, s0
	s_addc_u32 s1, s15, s1
	s_clause 0x1
	global_store_b64 v0, v[3:4], s[2:3] glc slc dlc
	global_store_b64 v0, v[5:6], s[0:1] glc slc dlc
.LBB63_91:
	s_nop 0
	s_sendmsg sendmsg(MSG_DEALLOC_VGPRS)
	s_endpgm
	.section	.rodata,"a",@progbits
	.p2align	6, 0x0
	.amdhsa_kernel _ZN9rocsparseL26coomvn_aos_segmented_loopsILj256Elf21rocsparse_complex_numIfES2_S2_EEvlT0_NS_24const_host_device_scalarIT4_EEPKS3_PKT1_PKT2_PT3_PS3_PS5_21rocsparse_index_base_b
		.amdhsa_group_segment_fixed_size 4096
		.amdhsa_private_segment_fixed_size 0
		.amdhsa_kernarg_size 80
		.amdhsa_user_sgpr_count 15
		.amdhsa_user_sgpr_dispatch_ptr 0
		.amdhsa_user_sgpr_queue_ptr 0
		.amdhsa_user_sgpr_kernarg_segment_ptr 1
		.amdhsa_user_sgpr_dispatch_id 0
		.amdhsa_user_sgpr_private_segment_size 0
		.amdhsa_wavefront_size32 1
		.amdhsa_uses_dynamic_stack 0
		.amdhsa_enable_private_segment 0
		.amdhsa_system_sgpr_workgroup_id_x 1
		.amdhsa_system_sgpr_workgroup_id_y 0
		.amdhsa_system_sgpr_workgroup_id_z 0
		.amdhsa_system_sgpr_workgroup_info 0
		.amdhsa_system_vgpr_workitem_id 0
		.amdhsa_next_free_vgpr 38
		.amdhsa_next_free_sgpr 38
		.amdhsa_reserve_vcc 1
		.amdhsa_float_round_mode_32 0
		.amdhsa_float_round_mode_16_64 0
		.amdhsa_float_denorm_mode_32 3
		.amdhsa_float_denorm_mode_16_64 3
		.amdhsa_dx10_clamp 1
		.amdhsa_ieee_mode 1
		.amdhsa_fp16_overflow 0
		.amdhsa_workgroup_processor_mode 1
		.amdhsa_memory_ordered 1
		.amdhsa_forward_progress 0
		.amdhsa_shared_vgpr_count 0
		.amdhsa_exception_fp_ieee_invalid_op 0
		.amdhsa_exception_fp_denorm_src 0
		.amdhsa_exception_fp_ieee_div_zero 0
		.amdhsa_exception_fp_ieee_overflow 0
		.amdhsa_exception_fp_ieee_underflow 0
		.amdhsa_exception_fp_ieee_inexact 0
		.amdhsa_exception_int_div_zero 0
	.end_amdhsa_kernel
	.section	.text._ZN9rocsparseL26coomvn_aos_segmented_loopsILj256Elf21rocsparse_complex_numIfES2_S2_EEvlT0_NS_24const_host_device_scalarIT4_EEPKS3_PKT1_PKT2_PT3_PS3_PS5_21rocsparse_index_base_b,"axG",@progbits,_ZN9rocsparseL26coomvn_aos_segmented_loopsILj256Elf21rocsparse_complex_numIfES2_S2_EEvlT0_NS_24const_host_device_scalarIT4_EEPKS3_PKT1_PKT2_PT3_PS3_PS5_21rocsparse_index_base_b,comdat
.Lfunc_end63:
	.size	_ZN9rocsparseL26coomvn_aos_segmented_loopsILj256Elf21rocsparse_complex_numIfES2_S2_EEvlT0_NS_24const_host_device_scalarIT4_EEPKS3_PKT1_PKT2_PT3_PS3_PS5_21rocsparse_index_base_b, .Lfunc_end63-_ZN9rocsparseL26coomvn_aos_segmented_loopsILj256Elf21rocsparse_complex_numIfES2_S2_EEvlT0_NS_24const_host_device_scalarIT4_EEPKS3_PKT1_PKT2_PT3_PS3_PS5_21rocsparse_index_base_b
                                        ; -- End function
	.section	.AMDGPU.csdata,"",@progbits
; Kernel info:
; codeLenInByte = 3320
; NumSgprs: 40
; NumVgprs: 38
; ScratchSize: 0
; MemoryBound: 0
; FloatMode: 240
; IeeeMode: 1
; LDSByteSize: 4096 bytes/workgroup (compile time only)
; SGPRBlocks: 4
; VGPRBlocks: 4
; NumSGPRsForWavesPerEU: 40
; NumVGPRsForWavesPerEU: 38
; Occupancy: 16
; WaveLimiterHint : 1
; COMPUTE_PGM_RSRC2:SCRATCH_EN: 0
; COMPUTE_PGM_RSRC2:USER_SGPR: 15
; COMPUTE_PGM_RSRC2:TRAP_HANDLER: 0
; COMPUTE_PGM_RSRC2:TGID_X_EN: 1
; COMPUTE_PGM_RSRC2:TGID_Y_EN: 0
; COMPUTE_PGM_RSRC2:TGID_Z_EN: 0
; COMPUTE_PGM_RSRC2:TIDIG_COMP_CNT: 0
	.section	.text._ZN9rocsparseL23coomvn_aos_atomic_loopsILj256ELj1Eid21rocsparse_complex_numIdES2_S2_EEvlNS_24const_host_device_scalarIT5_EEPKT1_PKT2_PKT3_PT4_21rocsparse_index_base_b,"axG",@progbits,_ZN9rocsparseL23coomvn_aos_atomic_loopsILj256ELj1Eid21rocsparse_complex_numIdES2_S2_EEvlNS_24const_host_device_scalarIT5_EEPKT1_PKT2_PKT3_PT4_21rocsparse_index_base_b,comdat
	.globl	_ZN9rocsparseL23coomvn_aos_atomic_loopsILj256ELj1Eid21rocsparse_complex_numIdES2_S2_EEvlNS_24const_host_device_scalarIT5_EEPKT1_PKT2_PKT3_PT4_21rocsparse_index_base_b ; -- Begin function _ZN9rocsparseL23coomvn_aos_atomic_loopsILj256ELj1Eid21rocsparse_complex_numIdES2_S2_EEvlNS_24const_host_device_scalarIT5_EEPKT1_PKT2_PKT3_PT4_21rocsparse_index_base_b
	.p2align	8
	.type	_ZN9rocsparseL23coomvn_aos_atomic_loopsILj256ELj1Eid21rocsparse_complex_numIdES2_S2_EEvlNS_24const_host_device_scalarIT5_EEPKT1_PKT2_PKT3_PT4_21rocsparse_index_base_b,@function
_ZN9rocsparseL23coomvn_aos_atomic_loopsILj256ELj1Eid21rocsparse_complex_numIdES2_S2_EEvlNS_24const_host_device_scalarIT5_EEPKT1_PKT2_PKT3_PT4_21rocsparse_index_base_b: ; @_ZN9rocsparseL23coomvn_aos_atomic_loopsILj256ELj1Eid21rocsparse_complex_numIdES2_S2_EEvlNS_24const_host_device_scalarIT5_EEPKT1_PKT2_PKT3_PT4_21rocsparse_index_base_b
; %bb.0:
	s_load_b64 s[0:1], s[0:1], 0x4
	s_clause 0x1
	s_load_b128 s[4:7], s[2:3], 0x0
	s_load_b64 s[10:11], s[2:3], 0x10
	v_and_b32_e32 v17, 0x3ff, v0
	s_load_b64 s[8:9], s[2:3], 0x38
	v_bfe_u32 v2, v0, 10, 10
	v_bfe_u32 v0, v0, 20, 10
	s_waitcnt lgkmcnt(0)
	s_lshr_b32 s0, s0, 16
	s_delay_alu instid0(SALU_CYCLE_1)
	s_mul_i32 s0, s0, s1
	v_mov_b32_e32 v10, s10
	v_mul_lo_u32 v1, s0, v17
	s_and_b32 s9, 1, s9
	v_mov_b32_e32 v11, s11
	s_cmp_eq_u32 s9, 1
	s_cselect_b32 vcc_lo, -1, 0
	s_delay_alu instid0(VALU_DEP_2) | instskip(SKIP_3) | instid1(VALU_DEP_3)
	v_mad_u32_u24 v1, v2, s1, v1
	v_mov_b32_e32 v2, s6
	s_mov_b64 s[0:1], src_shared_base
	v_mov_b32_e32 v3, s7
	v_add_lshl_u32 v4, v1, v0, 3
	s_delay_alu instid0(VALU_DEP_1) | instskip(SKIP_4) | instid1(SALU_CYCLE_1)
	v_add_nc_u32_e32 v0, 0x1400, v4
	ds_store_b64 v4, v[2:3] offset:5120
	v_cndmask_b32_e32 v0, s6, v0, vcc_lo
	s_and_b32 vcc_lo, exec_lo, vcc_lo
	s_cselect_b32 s0, s1, s7
	v_mov_b32_e32 v1, s0
	flat_load_b64 v[8:9], v[0:1]
	s_cbranch_vccnz .LBB64_2
; %bb.1:
	v_dual_mov_b32 v0, s6 :: v_dual_mov_b32 v1, s7
	flat_load_b64 v[10:11], v[0:1] offset:8
.LBB64_2:
	s_waitcnt vmcnt(0) lgkmcnt(0)
	v_cmp_neq_f64_e32 vcc_lo, 0, v[8:9]
	v_cmp_neq_f64_e64 s0, 0, v[10:11]
	s_delay_alu instid0(VALU_DEP_1) | instskip(NEXT) | instid1(SALU_CYCLE_1)
	s_or_b32 s0, vcc_lo, s0
	s_and_saveexec_b32 s1, s0
	s_cbranch_execz .LBB64_48
; %bb.3:
	v_dual_mov_b32 v5, 0 :: v_dual_mov_b32 v0, 0
	v_dual_mov_b32 v1, 0 :: v_dual_mov_b32 v12, -1
	v_lshl_or_b32 v4, s15, 8, v17
	s_mov_b32 s0, exec_lo
	s_delay_alu instid0(VALU_DEP_2) | instskip(NEXT) | instid1(VALU_DEP_2)
	v_dual_mov_b32 v3, v1 :: v_dual_mov_b32 v2, v0
	v_cmpx_gt_i64_e64 s[4:5], v[4:5]
	s_cbranch_execz .LBB64_5
; %bb.4:
	s_clause 0x1
	s_load_b128 s[4:7], s[2:3], 0x18
	s_load_b64 s[10:11], s[2:3], 0x28
	v_lshlrev_b64 v[0:1], 3, v[4:5]
	s_waitcnt lgkmcnt(0)
	s_delay_alu instid0(VALU_DEP_1) | instskip(NEXT) | instid1(VALU_DEP_2)
	v_add_co_u32 v2, vcc_lo, s4, v0
	v_add_co_ci_u32_e32 v3, vcc_lo, s5, v1, vcc_lo
	global_load_b64 v[6:7], v[2:3], off slc dlc
	s_waitcnt vmcnt(0)
	v_subrev_nc_u32_e32 v2, s8, v7
	s_delay_alu instid0(VALU_DEP_1) | instskip(NEXT) | instid1(VALU_DEP_1)
	v_ashrrev_i32_e32 v3, 31, v2
	v_lshlrev_b64 v[2:3], 4, v[2:3]
	s_delay_alu instid0(VALU_DEP_1) | instskip(NEXT) | instid1(VALU_DEP_2)
	v_add_co_u32 v2, vcc_lo, s10, v2
	v_add_co_ci_u32_e32 v3, vcc_lo, s11, v3, vcc_lo
	v_add_co_u32 v0, vcc_lo, s6, v0
	v_add_co_ci_u32_e32 v1, vcc_lo, s7, v1, vcc_lo
	global_load_b128 v[2:5], v[2:3], off
	global_load_b64 v[0:1], v[0:1], off slc dlc
	s_waitcnt vmcnt(1)
	v_mul_f64 v[12:13], 0x80000000, v[4:5]
	s_waitcnt vmcnt(0)
	v_mul_f64 v[4:5], v[0:1], v[4:5]
	s_delay_alu instid0(VALU_DEP_2) | instskip(NEXT) | instid1(VALU_DEP_2)
	v_fma_f64 v[0:1], v[0:1], v[2:3], v[12:13]
	v_fma_f64 v[2:3], v[2:3], 0, v[4:5]
	v_subrev_nc_u32_e32 v12, s8, v6
.LBB64_5:
	s_or_b32 exec_lo, exec_lo, s0
	v_lshlrev_b32_e32 v6, 2, v17
	v_lshlrev_b32_e32 v4, 4, v17
	s_mov_b32 s0, exec_lo
	ds_store_b32 v6, v12 offset:4096
	ds_store_b128 v4, v[0:3]
	v_or_b32_e32 v5, 0x1000, v6
	s_waitcnt lgkmcnt(0)
	s_barrier
	buffer_gl0_inv
	v_cmpx_ne_u32_e32 0, v17
	s_cbranch_execz .LBB64_9
; %bb.6:
	v_add_nc_u32_e32 v6, -4, v5
	s_mov_b32 s1, exec_lo
	ds_load_b32 v6, v6
	s_waitcnt lgkmcnt(0)
	v_cmpx_eq_u32_e64 v12, v6
	s_cbranch_execz .LBB64_8
; %bb.7:
	v_add_nc_u32_e32 v6, -16, v4
	ds_load_b128 v[13:16], v6
	s_waitcnt lgkmcnt(0)
	v_add_f64 v[0:1], v[0:1], v[13:14]
	v_add_f64 v[2:3], v[2:3], v[15:16]
.LBB64_8:
	s_or_b32 exec_lo, exec_lo, s1
.LBB64_9:
	s_delay_alu instid0(SALU_CYCLE_1) | instskip(NEXT) | instid1(SALU_CYCLE_1)
	s_or_b32 exec_lo, exec_lo, s0
	s_mov_b32 s0, exec_lo
	s_barrier
	buffer_gl0_inv
	ds_store_b128 v4, v[0:3]
	s_waitcnt lgkmcnt(0)
	s_barrier
	buffer_gl0_inv
	v_cmpx_lt_u32_e32 1, v17
	s_cbranch_execz .LBB64_13
; %bb.10:
	v_add_nc_u32_e32 v6, -8, v5
	s_mov_b32 s1, exec_lo
	ds_load_b32 v6, v6
	s_waitcnt lgkmcnt(0)
	v_cmpx_eq_u32_e64 v12, v6
	s_cbranch_execz .LBB64_12
; %bb.11:
	v_subrev_nc_u32_e32 v6, 32, v4
	ds_load_b128 v[13:16], v6
	s_waitcnt lgkmcnt(0)
	v_add_f64 v[0:1], v[0:1], v[13:14]
	v_add_f64 v[2:3], v[2:3], v[15:16]
.LBB64_12:
	s_or_b32 exec_lo, exec_lo, s1
.LBB64_13:
	s_delay_alu instid0(SALU_CYCLE_1) | instskip(NEXT) | instid1(SALU_CYCLE_1)
	s_or_b32 exec_lo, exec_lo, s0
	s_mov_b32 s0, exec_lo
	s_barrier
	buffer_gl0_inv
	ds_store_b128 v4, v[0:3]
	s_waitcnt lgkmcnt(0)
	s_barrier
	buffer_gl0_inv
	v_cmpx_lt_u32_e32 3, v17
	s_cbranch_execz .LBB64_17
; %bb.14:
	v_add_nc_u32_e32 v6, -16, v5
	s_mov_b32 s1, exec_lo
	ds_load_b32 v6, v6
	s_waitcnt lgkmcnt(0)
	v_cmpx_eq_u32_e64 v12, v6
	s_cbranch_execz .LBB64_16
; %bb.15:
	v_subrev_nc_u32_e32 v6, 64, v4
	ds_load_b128 v[13:16], v6
	s_waitcnt lgkmcnt(0)
	v_add_f64 v[0:1], v[0:1], v[13:14]
	v_add_f64 v[2:3], v[2:3], v[15:16]
.LBB64_16:
	s_or_b32 exec_lo, exec_lo, s1
.LBB64_17:
	s_delay_alu instid0(SALU_CYCLE_1) | instskip(NEXT) | instid1(SALU_CYCLE_1)
	s_or_b32 exec_lo, exec_lo, s0
	s_mov_b32 s0, exec_lo
	s_barrier
	buffer_gl0_inv
	ds_store_b128 v4, v[0:3]
	s_waitcnt lgkmcnt(0)
	s_barrier
	buffer_gl0_inv
	v_cmpx_lt_u32_e32 7, v17
	s_cbranch_execz .LBB64_21
; %bb.18:
	v_subrev_nc_u32_e32 v6, 32, v5
	s_mov_b32 s1, exec_lo
	ds_load_b32 v6, v6
	s_waitcnt lgkmcnt(0)
	v_cmpx_eq_u32_e64 v12, v6
	s_cbranch_execz .LBB64_20
; %bb.19:
	v_add_nc_u32_e32 v6, 0xffffff80, v4
	ds_load_b128 v[13:16], v6
	s_waitcnt lgkmcnt(0)
	v_add_f64 v[0:1], v[0:1], v[13:14]
	v_add_f64 v[2:3], v[2:3], v[15:16]
.LBB64_20:
	s_or_b32 exec_lo, exec_lo, s1
.LBB64_21:
	s_delay_alu instid0(SALU_CYCLE_1) | instskip(NEXT) | instid1(SALU_CYCLE_1)
	s_or_b32 exec_lo, exec_lo, s0
	s_mov_b32 s0, exec_lo
	s_barrier
	buffer_gl0_inv
	ds_store_b128 v4, v[0:3]
	s_waitcnt lgkmcnt(0)
	s_barrier
	buffer_gl0_inv
	v_cmpx_lt_u32_e32 15, v17
	s_cbranch_execz .LBB64_25
; %bb.22:
	v_subrev_nc_u32_e32 v6, 64, v5
	s_mov_b32 s1, exec_lo
	ds_load_b32 v6, v6
	s_waitcnt lgkmcnt(0)
	v_cmpx_eq_u32_e64 v12, v6
	s_cbranch_execz .LBB64_24
; %bb.23:
	v_add_nc_u32_e32 v6, 0xffffff00, v4
	ds_load_b128 v[13:16], v6
	s_waitcnt lgkmcnt(0)
	v_add_f64 v[0:1], v[0:1], v[13:14]
	v_add_f64 v[2:3], v[2:3], v[15:16]
.LBB64_24:
	s_or_b32 exec_lo, exec_lo, s1
.LBB64_25:
	s_delay_alu instid0(SALU_CYCLE_1) | instskip(NEXT) | instid1(SALU_CYCLE_1)
	s_or_b32 exec_lo, exec_lo, s0
	s_mov_b32 s0, exec_lo
	s_barrier
	buffer_gl0_inv
	ds_store_b128 v4, v[0:3]
	s_waitcnt lgkmcnt(0)
	s_barrier
	buffer_gl0_inv
	v_cmpx_lt_u32_e32 31, v17
	s_cbranch_execz .LBB64_29
; %bb.26:
	v_add_nc_u32_e32 v6, 0xffffff80, v5
	s_mov_b32 s1, exec_lo
	ds_load_b32 v6, v6
	s_waitcnt lgkmcnt(0)
	v_cmpx_eq_u32_e64 v12, v6
	s_cbranch_execz .LBB64_28
; %bb.27:
	v_add_nc_u32_e32 v6, 0xfffffe00, v4
	ds_load_b128 v[13:16], v6
	s_waitcnt lgkmcnt(0)
	v_add_f64 v[0:1], v[0:1], v[13:14]
	v_add_f64 v[2:3], v[2:3], v[15:16]
.LBB64_28:
	s_or_b32 exec_lo, exec_lo, s1
.LBB64_29:
	s_delay_alu instid0(SALU_CYCLE_1) | instskip(NEXT) | instid1(SALU_CYCLE_1)
	s_or_b32 exec_lo, exec_lo, s0
	s_mov_b32 s0, exec_lo
	s_barrier
	buffer_gl0_inv
	ds_store_b128 v4, v[0:3]
	s_waitcnt lgkmcnt(0)
	s_barrier
	buffer_gl0_inv
	v_cmpx_lt_u32_e32 63, v17
	s_cbranch_execz .LBB64_33
; %bb.30:
	v_add_nc_u32_e32 v6, 0xffffff00, v5
	s_mov_b32 s1, exec_lo
	ds_load_b32 v6, v6
	s_waitcnt lgkmcnt(0)
	v_cmpx_eq_u32_e64 v12, v6
	s_cbranch_execz .LBB64_32
; %bb.31:
	v_add_nc_u32_e32 v6, 0xfffffc00, v4
	ds_load_b128 v[13:16], v6
	s_waitcnt lgkmcnt(0)
	v_add_f64 v[0:1], v[0:1], v[13:14]
	v_add_f64 v[2:3], v[2:3], v[15:16]
.LBB64_32:
	s_or_b32 exec_lo, exec_lo, s1
.LBB64_33:
	s_delay_alu instid0(SALU_CYCLE_1)
	s_or_b32 exec_lo, exec_lo, s0
	s_load_b64 s[2:3], s[2:3], 0x30
	s_mov_b32 s0, exec_lo
	s_waitcnt lgkmcnt(0)
	s_barrier
	buffer_gl0_inv
	ds_store_b128 v4, v[0:3]
	s_waitcnt lgkmcnt(0)
	s_barrier
	buffer_gl0_inv
	v_cmpx_lt_u32_e32 0x7f, v17
	s_cbranch_execz .LBB64_37
; %bb.34:
	v_add_nc_u32_e32 v6, 0xfffffe00, v5
	s_mov_b32 s1, exec_lo
	ds_load_b32 v6, v6
	s_waitcnt lgkmcnt(0)
	v_cmpx_eq_u32_e64 v12, v6
	s_cbranch_execz .LBB64_36
; %bb.35:
	v_add_nc_u32_e32 v6, 0xfffff800, v4
	ds_load_b128 v[13:16], v6
	s_waitcnt lgkmcnt(0)
	v_add_f64 v[0:1], v[0:1], v[13:14]
	v_add_f64 v[2:3], v[2:3], v[15:16]
.LBB64_36:
	s_or_b32 exec_lo, exec_lo, s1
.LBB64_37:
	s_delay_alu instid0(SALU_CYCLE_1) | instskip(NEXT) | instid1(SALU_CYCLE_1)
	s_or_b32 exec_lo, exec_lo, s0
	s_mov_b32 s1, exec_lo
	s_barrier
	buffer_gl0_inv
	ds_store_b128 v4, v[0:3]
	s_waitcnt lgkmcnt(0)
	s_barrier
	buffer_gl0_inv
	v_cmpx_gt_u32_e32 0xff, v17
	s_cbranch_execz .LBB64_43
; %bb.38:
	ds_load_b32 v4, v5 offset:4
	v_cmp_lt_i32_e64 s0, -1, v12
	s_waitcnt lgkmcnt(0)
	v_cmp_ne_u32_e32 vcc_lo, v12, v4
	s_delay_alu instid0(VALU_DEP_2) | instskip(NEXT) | instid1(SALU_CYCLE_1)
	s_and_b32 s0, s0, vcc_lo
	s_and_b32 exec_lo, exec_lo, s0
	s_cbranch_execz .LBB64_43
; %bb.39:
	v_mov_b32_e32 v13, 0
	s_mov_b32 s0, 0
	s_delay_alu instid0(VALU_DEP_1) | instskip(NEXT) | instid1(VALU_DEP_1)
	v_lshlrev_b64 v[4:5], 4, v[12:13]
	v_add_co_u32 v13, vcc_lo, s2, v4
	s_delay_alu instid0(VALU_DEP_2)
	v_add_co_ci_u32_e32 v14, vcc_lo, s3, v5, vcc_lo
	v_mul_f64 v[4:5], v[2:3], -v[10:11]
	global_load_b64 v[6:7], v[13:14], off
	v_fma_f64 v[15:16], v[8:9], v[0:1], v[4:5]
.LBB64_40:                              ; =>This Inner Loop Header: Depth=1
	s_waitcnt vmcnt(0)
	s_delay_alu instid0(VALU_DEP_1)
	v_add_f64 v[4:5], v[6:7], v[15:16]
	global_atomic_cmpswap_b64 v[4:5], v[13:14], v[4:7], off glc
	s_waitcnt vmcnt(0)
	v_cmp_eq_u64_e32 vcc_lo, v[4:5], v[6:7]
	v_dual_mov_b32 v7, v5 :: v_dual_mov_b32 v6, v4
	s_or_b32 s0, vcc_lo, s0
	s_delay_alu instid0(SALU_CYCLE_1)
	s_and_not1_b32 exec_lo, exec_lo, s0
	s_cbranch_execnz .LBB64_40
; %bb.41:
	s_or_b32 exec_lo, exec_lo, s0
	global_load_b64 v[6:7], v[13:14], off offset:8
	v_mul_f64 v[4:5], v[8:9], v[2:3]
	s_mov_b32 s0, 0
	s_delay_alu instid0(VALU_DEP_1)
	v_fma_f64 v[15:16], v[10:11], v[0:1], v[4:5]
.LBB64_42:                              ; =>This Inner Loop Header: Depth=1
	s_waitcnt vmcnt(0)
	s_delay_alu instid0(VALU_DEP_1)
	v_add_f64 v[4:5], v[6:7], v[15:16]
	global_atomic_cmpswap_b64 v[4:5], v[13:14], v[4:7], off offset:8 glc
	s_waitcnt vmcnt(0)
	v_cmp_eq_u64_e32 vcc_lo, v[4:5], v[6:7]
	v_dual_mov_b32 v7, v5 :: v_dual_mov_b32 v6, v4
	s_or_b32 s0, vcc_lo, s0
	s_delay_alu instid0(SALU_CYCLE_1)
	s_and_not1_b32 exec_lo, exec_lo, s0
	s_cbranch_execnz .LBB64_42
.LBB64_43:
	s_or_b32 exec_lo, exec_lo, s1
	v_cmp_eq_u32_e32 vcc_lo, 0xff, v17
	v_cmp_lt_i32_e64 s0, -1, v12
	s_delay_alu instid0(VALU_DEP_1) | instskip(NEXT) | instid1(SALU_CYCLE_1)
	s_and_b32 s0, vcc_lo, s0
	s_and_b32 exec_lo, exec_lo, s0
	s_cbranch_execz .LBB64_48
; %bb.44:
	v_mov_b32_e32 v13, 0
	s_mov_b32 s0, 0
	s_delay_alu instid0(VALU_DEP_1) | instskip(NEXT) | instid1(VALU_DEP_1)
	v_lshlrev_b64 v[4:5], 4, v[12:13]
	v_add_co_u32 v12, vcc_lo, s2, v4
	s_delay_alu instid0(VALU_DEP_2)
	v_add_co_ci_u32_e32 v13, vcc_lo, s3, v5, vcc_lo
	v_mul_f64 v[4:5], v[2:3], -v[10:11]
	global_load_b64 v[6:7], v[12:13], off
	v_fma_f64 v[14:15], v[8:9], v[0:1], v[4:5]
.LBB64_45:                              ; =>This Inner Loop Header: Depth=1
	s_waitcnt vmcnt(0)
	s_delay_alu instid0(VALU_DEP_1)
	v_add_f64 v[4:5], v[6:7], v[14:15]
	global_atomic_cmpswap_b64 v[4:5], v[12:13], v[4:7], off glc
	s_waitcnt vmcnt(0)
	v_cmp_eq_u64_e32 vcc_lo, v[4:5], v[6:7]
	v_dual_mov_b32 v7, v5 :: v_dual_mov_b32 v6, v4
	s_or_b32 s0, vcc_lo, s0
	s_delay_alu instid0(SALU_CYCLE_1)
	s_and_not1_b32 exec_lo, exec_lo, s0
	s_cbranch_execnz .LBB64_45
; %bb.46:
	s_or_b32 exec_lo, exec_lo, s0
	global_load_b64 v[4:5], v[12:13], off offset:8
	v_mul_f64 v[2:3], v[8:9], v[2:3]
	s_mov_b32 s0, 0
	s_delay_alu instid0(VALU_DEP_1)
	v_fma_f64 v[0:1], v[10:11], v[0:1], v[2:3]
.LBB64_47:                              ; =>This Inner Loop Header: Depth=1
	s_waitcnt vmcnt(0)
	s_delay_alu instid0(VALU_DEP_1)
	v_add_f64 v[2:3], v[4:5], v[0:1]
	global_atomic_cmpswap_b64 v[2:3], v[12:13], v[2:5], off offset:8 glc
	s_waitcnt vmcnt(0)
	v_cmp_eq_u64_e32 vcc_lo, v[2:3], v[4:5]
	v_dual_mov_b32 v5, v3 :: v_dual_mov_b32 v4, v2
	s_or_b32 s0, vcc_lo, s0
	s_delay_alu instid0(SALU_CYCLE_1)
	s_and_not1_b32 exec_lo, exec_lo, s0
	s_cbranch_execnz .LBB64_47
.LBB64_48:
	s_endpgm
	.section	.rodata,"a",@progbits
	.p2align	6, 0x0
	.amdhsa_kernel _ZN9rocsparseL23coomvn_aos_atomic_loopsILj256ELj1Eid21rocsparse_complex_numIdES2_S2_EEvlNS_24const_host_device_scalarIT5_EEPKT1_PKT2_PKT3_PT4_21rocsparse_index_base_b
		.amdhsa_group_segment_fixed_size 7168
		.amdhsa_private_segment_fixed_size 0
		.amdhsa_kernarg_size 64
		.amdhsa_user_sgpr_count 15
		.amdhsa_user_sgpr_dispatch_ptr 1
		.amdhsa_user_sgpr_queue_ptr 0
		.amdhsa_user_sgpr_kernarg_segment_ptr 1
		.amdhsa_user_sgpr_dispatch_id 0
		.amdhsa_user_sgpr_private_segment_size 0
		.amdhsa_wavefront_size32 1
		.amdhsa_uses_dynamic_stack 0
		.amdhsa_enable_private_segment 0
		.amdhsa_system_sgpr_workgroup_id_x 1
		.amdhsa_system_sgpr_workgroup_id_y 0
		.amdhsa_system_sgpr_workgroup_id_z 0
		.amdhsa_system_sgpr_workgroup_info 0
		.amdhsa_system_vgpr_workitem_id 2
		.amdhsa_next_free_vgpr 18
		.amdhsa_next_free_sgpr 16
		.amdhsa_reserve_vcc 1
		.amdhsa_float_round_mode_32 0
		.amdhsa_float_round_mode_16_64 0
		.amdhsa_float_denorm_mode_32 3
		.amdhsa_float_denorm_mode_16_64 3
		.amdhsa_dx10_clamp 1
		.amdhsa_ieee_mode 1
		.amdhsa_fp16_overflow 0
		.amdhsa_workgroup_processor_mode 1
		.amdhsa_memory_ordered 1
		.amdhsa_forward_progress 0
		.amdhsa_shared_vgpr_count 0
		.amdhsa_exception_fp_ieee_invalid_op 0
		.amdhsa_exception_fp_denorm_src 0
		.amdhsa_exception_fp_ieee_div_zero 0
		.amdhsa_exception_fp_ieee_overflow 0
		.amdhsa_exception_fp_ieee_underflow 0
		.amdhsa_exception_fp_ieee_inexact 0
		.amdhsa_exception_int_div_zero 0
	.end_amdhsa_kernel
	.section	.text._ZN9rocsparseL23coomvn_aos_atomic_loopsILj256ELj1Eid21rocsparse_complex_numIdES2_S2_EEvlNS_24const_host_device_scalarIT5_EEPKT1_PKT2_PKT3_PT4_21rocsparse_index_base_b,"axG",@progbits,_ZN9rocsparseL23coomvn_aos_atomic_loopsILj256ELj1Eid21rocsparse_complex_numIdES2_S2_EEvlNS_24const_host_device_scalarIT5_EEPKT1_PKT2_PKT3_PT4_21rocsparse_index_base_b,comdat
.Lfunc_end64:
	.size	_ZN9rocsparseL23coomvn_aos_atomic_loopsILj256ELj1Eid21rocsparse_complex_numIdES2_S2_EEvlNS_24const_host_device_scalarIT5_EEPKT1_PKT2_PKT3_PT4_21rocsparse_index_base_b, .Lfunc_end64-_ZN9rocsparseL23coomvn_aos_atomic_loopsILj256ELj1Eid21rocsparse_complex_numIdES2_S2_EEvlNS_24const_host_device_scalarIT5_EEPKT1_PKT2_PKT3_PT4_21rocsparse_index_base_b
                                        ; -- End function
	.section	.AMDGPU.csdata,"",@progbits
; Kernel info:
; codeLenInByte = 2064
; NumSgprs: 18
; NumVgprs: 18
; ScratchSize: 0
; MemoryBound: 0
; FloatMode: 240
; IeeeMode: 1
; LDSByteSize: 7168 bytes/workgroup (compile time only)
; SGPRBlocks: 2
; VGPRBlocks: 2
; NumSGPRsForWavesPerEU: 18
; NumVGPRsForWavesPerEU: 18
; Occupancy: 16
; WaveLimiterHint : 1
; COMPUTE_PGM_RSRC2:SCRATCH_EN: 0
; COMPUTE_PGM_RSRC2:USER_SGPR: 15
; COMPUTE_PGM_RSRC2:TRAP_HANDLER: 0
; COMPUTE_PGM_RSRC2:TGID_X_EN: 1
; COMPUTE_PGM_RSRC2:TGID_Y_EN: 0
; COMPUTE_PGM_RSRC2:TGID_Z_EN: 0
; COMPUTE_PGM_RSRC2:TIDIG_COMP_CNT: 2
	.section	.text._ZN9rocsparseL17coomvt_aos_kernelILj1024Eid21rocsparse_complex_numIdES2_S2_EEv20rocsparse_operation_lNS_24const_host_device_scalarIT4_EEPKT0_PKT1_PKT2_PT3_21rocsparse_index_base_b,"axG",@progbits,_ZN9rocsparseL17coomvt_aos_kernelILj1024Eid21rocsparse_complex_numIdES2_S2_EEv20rocsparse_operation_lNS_24const_host_device_scalarIT4_EEPKT0_PKT1_PKT2_PT3_21rocsparse_index_base_b,comdat
	.globl	_ZN9rocsparseL17coomvt_aos_kernelILj1024Eid21rocsparse_complex_numIdES2_S2_EEv20rocsparse_operation_lNS_24const_host_device_scalarIT4_EEPKT0_PKT1_PKT2_PT3_21rocsparse_index_base_b ; -- Begin function _ZN9rocsparseL17coomvt_aos_kernelILj1024Eid21rocsparse_complex_numIdES2_S2_EEv20rocsparse_operation_lNS_24const_host_device_scalarIT4_EEPKT0_PKT1_PKT2_PT3_21rocsparse_index_base_b
	.p2align	8
	.type	_ZN9rocsparseL17coomvt_aos_kernelILj1024Eid21rocsparse_complex_numIdES2_S2_EEv20rocsparse_operation_lNS_24const_host_device_scalarIT4_EEPKT0_PKT1_PKT2_PT3_21rocsparse_index_base_b,@function
_ZN9rocsparseL17coomvt_aos_kernelILj1024Eid21rocsparse_complex_numIdES2_S2_EEv20rocsparse_operation_lNS_24const_host_device_scalarIT4_EEPKT0_PKT1_PKT2_PT3_21rocsparse_index_base_b: ; @_ZN9rocsparseL17coomvt_aos_kernelILj1024Eid21rocsparse_complex_numIdES2_S2_EEv20rocsparse_operation_lNS_24const_host_device_scalarIT4_EEPKT0_PKT1_PKT2_PT3_21rocsparse_index_base_b
; %bb.0:
	s_load_b64 s[0:1], s[0:1], 0x4
	s_clause 0x2
	s_load_b64 s[8:9], s[2:3], 0x40
	s_load_b128 s[4:7], s[2:3], 0x8
	s_load_b64 s[10:11], s[2:3], 0x18
	v_and_b32_e32 v1, 0x3ff, v0
	v_bfe_u32 v3, v0, 10, 10
	v_bfe_u32 v0, v0, 20, 10
	s_waitcnt lgkmcnt(0)
	s_lshr_b32 s0, s0, 16
	s_and_b32 s9, 1, s9
	v_mov_b32_e32 v4, s6
	s_mul_i32 s0, s0, s1
	s_cmp_eq_u32 s9, 1
	v_mul_lo_u32 v2, s0, v1
	s_cselect_b32 vcc_lo, -1, 0
	v_dual_mov_b32 v5, s7 :: v_dual_mov_b32 v8, s10
	v_mov_b32_e32 v9, s11
	s_delay_alu instid0(VALU_DEP_3) | instskip(SKIP_1) | instid1(VALU_DEP_1)
	v_mad_u32_u24 v2, v3, s1, v2
	s_mov_b64 s[0:1], src_shared_base
	v_add_lshl_u32 v0, v2, v0, 3
	s_delay_alu instid0(VALU_DEP_1)
	v_cndmask_b32_e32 v2, s6, v0, vcc_lo
	s_and_b32 vcc_lo, vcc_lo, exec_lo
	s_cselect_b32 s0, s1, s7
	ds_store_b64 v0, v[4:5]
	v_mov_b32_e32 v3, s0
	flat_load_b64 v[4:5], v[2:3]
	s_cbranch_vccnz .LBB65_2
; %bb.1:
	v_dual_mov_b32 v2, s6 :: v_dual_mov_b32 v3, s7
	flat_load_b64 v[8:9], v[2:3] offset:8
.LBB65_2:
	s_waitcnt vmcnt(0) lgkmcnt(0)
	v_cmp_neq_f64_e32 vcc_lo, 0, v[4:5]
	v_cmp_neq_f64_e64 s0, 0, v[8:9]
	s_delay_alu instid0(VALU_DEP_1) | instskip(NEXT) | instid1(SALU_CYCLE_1)
	s_or_b32 s0, vcc_lo, s0
	s_and_saveexec_b32 s1, s0
	s_cbranch_execz .LBB65_8
; %bb.3:
	s_load_b32 s0, s[2:3], 0x54
	s_waitcnt lgkmcnt(0)
	s_and_b32 s0, s0, 0xffff
	s_delay_alu instid0(SALU_CYCLE_1) | instskip(SKIP_1) | instid1(VALU_DEP_1)
	v_mad_u64_u32 v[2:3], null, s15, s0, v[1:2]
	v_mov_b32_e32 v3, 0
	v_cmp_gt_i64_e32 vcc_lo, s[4:5], v[2:3]
	s_and_b32 exec_lo, exec_lo, vcc_lo
	s_cbranch_execz .LBB65_8
; %bb.4:
	s_load_b256 s[0:7], s[2:3], 0x20
	v_lshlrev_b64 v[0:1], 3, v[2:3]
	v_mul_f64 v[14:15], v[4:5], 0
	v_mul_f64 v[16:17], 0x80000000, v[8:9]
	s_waitcnt lgkmcnt(0)
	s_delay_alu instid0(VALU_DEP_3) | instskip(NEXT) | instid1(VALU_DEP_4)
	v_add_co_u32 v2, vcc_lo, s0, v0
	v_add_co_ci_u32_e32 v3, vcc_lo, s1, v1, vcc_lo
	v_add_co_u32 v0, vcc_lo, s2, v0
	v_add_co_ci_u32_e32 v1, vcc_lo, s3, v1, vcc_lo
	global_load_b64 v[6:7], v[2:3], off
	s_mov_b32 s0, 0
	global_load_b64 v[12:13], v[0:1], off
	s_waitcnt vmcnt(1)
	v_subrev_nc_u32_e32 v0, s8, v6
	v_subrev_nc_u32_e32 v6, s8, v7
	s_waitcnt vmcnt(0)
	v_fma_f64 v[8:9], v[8:9], v[12:13], v[14:15]
	v_fma_f64 v[12:13], v[4:5], v[12:13], v[16:17]
	v_ashrrev_i32_e32 v1, 31, v0
	v_ashrrev_i32_e32 v7, 31, v6
	s_delay_alu instid0(VALU_DEP_2) | instskip(NEXT) | instid1(VALU_DEP_2)
	v_lshlrev_b64 v[0:1], 4, v[0:1]
	v_lshlrev_b64 v[6:7], 4, v[6:7]
	s_delay_alu instid0(VALU_DEP_2) | instskip(NEXT) | instid1(VALU_DEP_3)
	v_add_co_u32 v0, vcc_lo, s4, v0
	v_add_co_ci_u32_e32 v1, vcc_lo, s5, v1, vcc_lo
	s_delay_alu instid0(VALU_DEP_3) | instskip(NEXT) | instid1(VALU_DEP_4)
	v_add_co_u32 v10, vcc_lo, s6, v6
	v_add_co_ci_u32_e32 v11, vcc_lo, s7, v7, vcc_lo
	global_load_b128 v[0:3], v[0:1], off
	global_load_b64 v[6:7], v[10:11], off
	s_waitcnt vmcnt(1)
	v_mul_f64 v[4:5], v[2:3], -v[8:9]
	s_delay_alu instid0(VALU_DEP_1)
	v_fma_f64 v[14:15], v[12:13], v[0:1], v[4:5]
.LBB65_5:                               ; =>This Inner Loop Header: Depth=1
	s_waitcnt vmcnt(0)
	s_delay_alu instid0(VALU_DEP_1)
	v_add_f64 v[4:5], v[6:7], v[14:15]
	global_atomic_cmpswap_b64 v[4:5], v[10:11], v[4:7], off glc
	s_waitcnt vmcnt(0)
	v_cmp_eq_u64_e32 vcc_lo, v[4:5], v[6:7]
	v_dual_mov_b32 v7, v5 :: v_dual_mov_b32 v6, v4
	s_or_b32 s0, vcc_lo, s0
	s_delay_alu instid0(SALU_CYCLE_1)
	s_and_not1_b32 exec_lo, exec_lo, s0
	s_cbranch_execnz .LBB65_5
; %bb.6:
	s_or_b32 exec_lo, exec_lo, s0
	global_load_b64 v[4:5], v[10:11], off offset:8
	v_mul_f64 v[2:3], v[12:13], v[2:3]
	s_mov_b32 s0, 0
	s_delay_alu instid0(VALU_DEP_1)
	v_fma_f64 v[0:1], v[8:9], v[0:1], v[2:3]
.LBB65_7:                               ; =>This Inner Loop Header: Depth=1
	s_waitcnt vmcnt(0)
	s_delay_alu instid0(VALU_DEP_1)
	v_add_f64 v[2:3], v[4:5], v[0:1]
	global_atomic_cmpswap_b64 v[2:3], v[10:11], v[2:5], off offset:8 glc
	s_waitcnt vmcnt(0)
	v_cmp_eq_u64_e32 vcc_lo, v[2:3], v[4:5]
	v_dual_mov_b32 v5, v3 :: v_dual_mov_b32 v4, v2
	s_or_b32 s0, vcc_lo, s0
	s_delay_alu instid0(SALU_CYCLE_1)
	s_and_not1_b32 exec_lo, exec_lo, s0
	s_cbranch_execnz .LBB65_7
.LBB65_8:
	s_endpgm
	.section	.rodata,"a",@progbits
	.p2align	6, 0x0
	.amdhsa_kernel _ZN9rocsparseL17coomvt_aos_kernelILj1024Eid21rocsparse_complex_numIdES2_S2_EEv20rocsparse_operation_lNS_24const_host_device_scalarIT4_EEPKT0_PKT1_PKT2_PT3_21rocsparse_index_base_b
		.amdhsa_group_segment_fixed_size 8192
		.amdhsa_private_segment_fixed_size 0
		.amdhsa_kernarg_size 328
		.amdhsa_user_sgpr_count 15
		.amdhsa_user_sgpr_dispatch_ptr 1
		.amdhsa_user_sgpr_queue_ptr 0
		.amdhsa_user_sgpr_kernarg_segment_ptr 1
		.amdhsa_user_sgpr_dispatch_id 0
		.amdhsa_user_sgpr_private_segment_size 0
		.amdhsa_wavefront_size32 1
		.amdhsa_uses_dynamic_stack 0
		.amdhsa_enable_private_segment 0
		.amdhsa_system_sgpr_workgroup_id_x 1
		.amdhsa_system_sgpr_workgroup_id_y 0
		.amdhsa_system_sgpr_workgroup_id_z 0
		.amdhsa_system_sgpr_workgroup_info 0
		.amdhsa_system_vgpr_workitem_id 2
		.amdhsa_next_free_vgpr 18
		.amdhsa_next_free_sgpr 16
		.amdhsa_reserve_vcc 1
		.amdhsa_float_round_mode_32 0
		.amdhsa_float_round_mode_16_64 0
		.amdhsa_float_denorm_mode_32 3
		.amdhsa_float_denorm_mode_16_64 3
		.amdhsa_dx10_clamp 1
		.amdhsa_ieee_mode 1
		.amdhsa_fp16_overflow 0
		.amdhsa_workgroup_processor_mode 1
		.amdhsa_memory_ordered 1
		.amdhsa_forward_progress 0
		.amdhsa_shared_vgpr_count 0
		.amdhsa_exception_fp_ieee_invalid_op 0
		.amdhsa_exception_fp_denorm_src 0
		.amdhsa_exception_fp_ieee_div_zero 0
		.amdhsa_exception_fp_ieee_overflow 0
		.amdhsa_exception_fp_ieee_underflow 0
		.amdhsa_exception_fp_ieee_inexact 0
		.amdhsa_exception_int_div_zero 0
	.end_amdhsa_kernel
	.section	.text._ZN9rocsparseL17coomvt_aos_kernelILj1024Eid21rocsparse_complex_numIdES2_S2_EEv20rocsparse_operation_lNS_24const_host_device_scalarIT4_EEPKT0_PKT1_PKT2_PT3_21rocsparse_index_base_b,"axG",@progbits,_ZN9rocsparseL17coomvt_aos_kernelILj1024Eid21rocsparse_complex_numIdES2_S2_EEv20rocsparse_operation_lNS_24const_host_device_scalarIT4_EEPKT0_PKT1_PKT2_PT3_21rocsparse_index_base_b,comdat
.Lfunc_end65:
	.size	_ZN9rocsparseL17coomvt_aos_kernelILj1024Eid21rocsparse_complex_numIdES2_S2_EEv20rocsparse_operation_lNS_24const_host_device_scalarIT4_EEPKT0_PKT1_PKT2_PT3_21rocsparse_index_base_b, .Lfunc_end65-_ZN9rocsparseL17coomvt_aos_kernelILj1024Eid21rocsparse_complex_numIdES2_S2_EEv20rocsparse_operation_lNS_24const_host_device_scalarIT4_EEPKT0_PKT1_PKT2_PT3_21rocsparse_index_base_b
                                        ; -- End function
	.section	.AMDGPU.csdata,"",@progbits
; Kernel info:
; codeLenInByte = 640
; NumSgprs: 18
; NumVgprs: 18
; ScratchSize: 0
; MemoryBound: 0
; FloatMode: 240
; IeeeMode: 1
; LDSByteSize: 8192 bytes/workgroup (compile time only)
; SGPRBlocks: 2
; VGPRBlocks: 2
; NumSGPRsForWavesPerEU: 18
; NumVGPRsForWavesPerEU: 18
; Occupancy: 16
; WaveLimiterHint : 1
; COMPUTE_PGM_RSRC2:SCRATCH_EN: 0
; COMPUTE_PGM_RSRC2:USER_SGPR: 15
; COMPUTE_PGM_RSRC2:TRAP_HANDLER: 0
; COMPUTE_PGM_RSRC2:TGID_X_EN: 1
; COMPUTE_PGM_RSRC2:TGID_Y_EN: 0
; COMPUTE_PGM_RSRC2:TGID_Z_EN: 0
; COMPUTE_PGM_RSRC2:TIDIG_COMP_CNT: 2
	.section	.text._ZN9rocsparseL26coomvn_aos_segmented_loopsILj256Eid21rocsparse_complex_numIdES2_S2_EEvlT0_NS_24const_host_device_scalarIT4_EEPKS3_PKT1_PKT2_PT3_PS3_PS5_21rocsparse_index_base_b,"axG",@progbits,_ZN9rocsparseL26coomvn_aos_segmented_loopsILj256Eid21rocsparse_complex_numIdES2_S2_EEvlT0_NS_24const_host_device_scalarIT4_EEPKS3_PKT1_PKT2_PT3_PS3_PS5_21rocsparse_index_base_b,comdat
	.globl	_ZN9rocsparseL26coomvn_aos_segmented_loopsILj256Eid21rocsparse_complex_numIdES2_S2_EEvlT0_NS_24const_host_device_scalarIT4_EEPKS3_PKT1_PKT2_PT3_PS3_PS5_21rocsparse_index_base_b ; -- Begin function _ZN9rocsparseL26coomvn_aos_segmented_loopsILj256Eid21rocsparse_complex_numIdES2_S2_EEvlT0_NS_24const_host_device_scalarIT4_EEPKS3_PKT1_PKT2_PT3_PS3_PS5_21rocsparse_index_base_b
	.p2align	8
	.type	_ZN9rocsparseL26coomvn_aos_segmented_loopsILj256Eid21rocsparse_complex_numIdES2_S2_EEvlT0_NS_24const_host_device_scalarIT4_EEPKS3_PKT1_PKT2_PT3_PS3_PS5_21rocsparse_index_base_b,@function
_ZN9rocsparseL26coomvn_aos_segmented_loopsILj256Eid21rocsparse_complex_numIdES2_S2_EEvlT0_NS_24const_host_device_scalarIT4_EEPKS3_PKT1_PKT2_PT3_PS3_PS5_21rocsparse_index_base_b: ; @_ZN9rocsparseL26coomvn_aos_segmented_loopsILj256Eid21rocsparse_complex_numIdES2_S2_EEvlT0_NS_24const_host_device_scalarIT4_EEPKS3_PKT1_PKT2_PT3_PS3_PS5_21rocsparse_index_base_b
; %bb.0:
	s_load_b64 s[0:1], s[0:1], 0x4
	s_clause 0x1
	s_load_b64 s[22:23], s[2:3], 0x50
	s_load_b128 s[4:7], s[2:3], 0x10
	v_and_b32_e32 v16, 0x3ff, v0
	v_bfe_u32 v2, v0, 10, 10
	v_bfe_u32 v0, v0, 20, 10
	s_mov_b32 s20, s15
	s_waitcnt lgkmcnt(0)
	s_lshr_b32 s0, s0, 16
	v_mov_b32_e32 v6, s6
	s_mul_i32 s0, s0, s1
	v_mov_b32_e32 v7, s7
	v_mul_lo_u32 v1, s0, v16
	s_and_b32 s0, 1, s23
	s_delay_alu instid0(SALU_CYCLE_1) | instskip(SKIP_1) | instid1(VALU_DEP_1)
	s_cmp_eq_u32 s0, 1
	s_cselect_b32 vcc_lo, -1, 0
	v_mad_u32_u24 v1, v2, s1, v1
	s_mov_b64 s[0:1], src_shared_base
	v_dual_mov_b32 v2, s4 :: v_dual_mov_b32 v3, s5
	s_delay_alu instid0(VALU_DEP_2) | instskip(NEXT) | instid1(VALU_DEP_1)
	v_add_lshl_u32 v4, v1, v0, 3
	v_add_nc_u32_e32 v0, 0x1400, v4
	ds_store_b64 v4, v[2:3] offset:5120
	v_cndmask_b32_e32 v0, s4, v0, vcc_lo
	s_and_b32 vcc_lo, exec_lo, vcc_lo
	s_cselect_b32 s0, s1, s5
	s_delay_alu instid0(SALU_CYCLE_1)
	v_mov_b32_e32 v1, s0
	flat_load_b64 v[4:5], v[0:1]
	s_cbranch_vccnz .LBB66_2
; %bb.1:
	v_dual_mov_b32 v0, s4 :: v_dual_mov_b32 v1, s5
	flat_load_b64 v[6:7], v[0:1] offset:8
.LBB66_2:
	s_waitcnt vmcnt(0) lgkmcnt(0)
	v_cmp_neq_f64_e32 vcc_lo, 0, v[4:5]
	v_cmp_neq_f64_e64 s0, 0, v[6:7]
	s_delay_alu instid0(VALU_DEP_1) | instskip(NEXT) | instid1(SALU_CYCLE_1)
	s_or_b32 s0, vcc_lo, s0
	s_and_saveexec_b32 s1, s0
	s_cbranch_execz .LBB66_89
; %bb.3:
	s_clause 0x3
	s_load_b32 s21, s[2:3], 0x8
	s_load_b64 s[24:25], s[2:3], 0x0
	s_load_b128 s[16:19], s[2:3], 0x20
	s_load_b64 s[28:29], s[2:3], 0x30
	v_dual_mov_b32 v15, 0 :: v_dual_mov_b32 v0, 0
	v_dual_mov_b32 v1, 0 :: v_dual_mov_b32 v8, -1
	s_delay_alu instid0(VALU_DEP_1) | instskip(SKIP_2) | instid1(SALU_CYCLE_1)
	v_dual_mov_b32 v3, v1 :: v_dual_mov_b32 v2, v0
	s_waitcnt lgkmcnt(0)
	s_mul_i32 s0, s20, s21
	v_lshl_or_b32 v14, s0, 8, v16
	s_mov_b32 s0, exec_lo
	s_delay_alu instid0(VALU_DEP_1)
	v_lshlrev_b64 v[10:11], 3, v[14:15]
	v_cmpx_gt_i64_e64 s[24:25], v[14:15]
	s_cbranch_execz .LBB66_5
; %bb.4:
	s_delay_alu instid0(VALU_DEP_2) | instskip(NEXT) | instid1(VALU_DEP_3)
	v_add_co_u32 v0, vcc_lo, s16, v10
	v_add_co_ci_u32_e32 v1, vcc_lo, s17, v11, vcc_lo
	s_ashr_i32 s23, s22, 31
	s_delay_alu instid0(SALU_CYCLE_1)
	s_lshl_b64 s[4:5], s[22:23], 4
	global_load_b64 v[8:9], v[0:1], off slc dlc
	s_waitcnt vmcnt(0)
	v_ashrrev_i32_e32 v1, 31, v9
	v_mov_b32_e32 v0, v9
	v_subrev_nc_u32_e32 v8, s22, v8
	s_delay_alu instid0(VALU_DEP_2) | instskip(NEXT) | instid1(VALU_DEP_1)
	v_lshlrev_b64 v[0:1], 4, v[0:1]
	v_add_co_u32 v0, vcc_lo, s28, v0
	s_delay_alu instid0(VALU_DEP_2) | instskip(NEXT) | instid1(VALU_DEP_2)
	v_add_co_ci_u32_e32 v1, vcc_lo, s29, v1, vcc_lo
	v_sub_co_u32 v0, vcc_lo, v0, s4
	s_delay_alu instid0(VALU_DEP_2)
	v_subrev_co_ci_u32_e32 v1, vcc_lo, s5, v1, vcc_lo
	v_add_co_u32 v2, vcc_lo, s18, v10
	v_add_co_ci_u32_e32 v3, vcc_lo, s19, v11, vcc_lo
	global_load_b128 v[17:20], v[0:1], off
	global_load_b64 v[0:1], v[2:3], off slc dlc
	s_waitcnt vmcnt(1)
	v_mul_f64 v[2:3], 0x80000000, v[19:20]
	s_waitcnt vmcnt(0)
	v_mul_f64 v[12:13], v[0:1], v[19:20]
	s_delay_alu instid0(VALU_DEP_2) | instskip(NEXT) | instid1(VALU_DEP_2)
	v_fma_f64 v[0:1], v[0:1], v[17:18], v[2:3]
	v_fma_f64 v[2:3], v[17:18], 0, v[12:13]
.LBB66_5:
	s_or_b32 exec_lo, exec_lo, s0
	v_lshlrev_b32_e32 v9, 2, v16
	v_lshlrev_b32_e32 v18, 4, v16
	v_cmp_eq_u32_e32 vcc_lo, 0, v16
	v_cmp_ne_u32_e64 s0, 0, v16
	ds_store_b32 v9, v8 offset:4096
	ds_store_b128 v18, v[0:3]
	v_or_b32_e32 v17, 0x1000, v9
	s_waitcnt lgkmcnt(0)
	s_barrier
	buffer_gl0_inv
	v_add_nc_u32_e32 v19, -4, v17
	s_and_saveexec_b32 s4, s0
	s_cbranch_execz .LBB66_9
; %bb.6:
	ds_load_b32 v9, v19
	s_mov_b32 s5, exec_lo
	s_waitcnt lgkmcnt(0)
	v_cmpx_eq_u32_e64 v8, v9
	s_cbranch_execz .LBB66_8
; %bb.7:
	v_add_nc_u32_e32 v9, -16, v18
	ds_load_b128 v[20:23], v9
	s_waitcnt lgkmcnt(0)
	v_add_f64 v[0:1], v[0:1], v[20:21]
	v_add_f64 v[2:3], v[2:3], v[22:23]
.LBB66_8:
	s_or_b32 exec_lo, exec_lo, s5
.LBB66_9:
	s_delay_alu instid0(SALU_CYCLE_1)
	s_or_b32 exec_lo, exec_lo, s4
	v_cmp_lt_u32_e64 s1, 1, v16
	v_add_nc_u32_e32 v20, -8, v17
	s_barrier
	buffer_gl0_inv
	ds_store_b128 v18, v[0:3]
	s_waitcnt lgkmcnt(0)
	s_barrier
	buffer_gl0_inv
	s_and_saveexec_b32 s5, s1
	s_cbranch_execz .LBB66_13
; %bb.10:
	ds_load_b32 v9, v20
	s_mov_b32 s6, exec_lo
	s_waitcnt lgkmcnt(0)
	v_cmpx_eq_u32_e64 v8, v9
	s_cbranch_execz .LBB66_12
; %bb.11:
	v_subrev_nc_u32_e32 v9, 32, v18
	ds_load_b128 v[21:24], v9
	s_waitcnt lgkmcnt(0)
	v_add_f64 v[0:1], v[0:1], v[21:22]
	v_add_f64 v[2:3], v[2:3], v[23:24]
.LBB66_12:
	s_or_b32 exec_lo, exec_lo, s6
.LBB66_13:
	s_delay_alu instid0(SALU_CYCLE_1)
	s_or_b32 exec_lo, exec_lo, s5
	v_cmp_lt_u32_e64 s4, 3, v16
	v_add_nc_u32_e32 v21, -16, v17
	s_barrier
	buffer_gl0_inv
	ds_store_b128 v18, v[0:3]
	s_waitcnt lgkmcnt(0)
	s_barrier
	buffer_gl0_inv
	s_and_saveexec_b32 s6, s4
	s_cbranch_execz .LBB66_17
; %bb.14:
	ds_load_b32 v9, v21
	s_mov_b32 s7, exec_lo
	s_waitcnt lgkmcnt(0)
	v_cmpx_eq_u32_e64 v8, v9
	s_cbranch_execz .LBB66_16
; %bb.15:
	v_subrev_nc_u32_e32 v9, 64, v18
	ds_load_b128 v[22:25], v9
	s_waitcnt lgkmcnt(0)
	v_add_f64 v[0:1], v[0:1], v[22:23]
	v_add_f64 v[2:3], v[2:3], v[24:25]
.LBB66_16:
	s_or_b32 exec_lo, exec_lo, s7
.LBB66_17:
	s_delay_alu instid0(SALU_CYCLE_1)
	s_or_b32 exec_lo, exec_lo, s6
	v_cmp_lt_u32_e64 s5, 7, v16
	v_subrev_nc_u32_e32 v22, 32, v17
	s_barrier
	buffer_gl0_inv
	ds_store_b128 v18, v[0:3]
	s_waitcnt lgkmcnt(0)
	s_barrier
	buffer_gl0_inv
	s_and_saveexec_b32 s7, s5
	s_cbranch_execz .LBB66_21
; %bb.18:
	ds_load_b32 v9, v22
	s_mov_b32 s8, exec_lo
	s_waitcnt lgkmcnt(0)
	v_cmpx_eq_u32_e64 v8, v9
	s_cbranch_execz .LBB66_20
; %bb.19:
	v_add_nc_u32_e32 v9, 0xffffff80, v18
	ds_load_b128 v[23:26], v9
	s_waitcnt lgkmcnt(0)
	v_add_f64 v[0:1], v[0:1], v[23:24]
	v_add_f64 v[2:3], v[2:3], v[25:26]
.LBB66_20:
	s_or_b32 exec_lo, exec_lo, s8
.LBB66_21:
	s_delay_alu instid0(SALU_CYCLE_1)
	s_or_b32 exec_lo, exec_lo, s7
	v_cmp_lt_u32_e64 s6, 15, v16
	v_subrev_nc_u32_e32 v23, 64, v17
	s_barrier
	buffer_gl0_inv
	ds_store_b128 v18, v[0:3]
	s_waitcnt lgkmcnt(0)
	s_barrier
	buffer_gl0_inv
	s_and_saveexec_b32 s8, s6
	s_cbranch_execz .LBB66_25
; %bb.22:
	ds_load_b32 v9, v23
	s_mov_b32 s9, exec_lo
	s_waitcnt lgkmcnt(0)
	v_cmpx_eq_u32_e64 v8, v9
	s_cbranch_execz .LBB66_24
; %bb.23:
	v_add_nc_u32_e32 v9, 0xffffff00, v18
	ds_load_b128 v[24:27], v9
	s_waitcnt lgkmcnt(0)
	v_add_f64 v[0:1], v[0:1], v[24:25]
	v_add_f64 v[2:3], v[2:3], v[26:27]
.LBB66_24:
	s_or_b32 exec_lo, exec_lo, s9
.LBB66_25:
	s_delay_alu instid0(SALU_CYCLE_1)
	s_or_b32 exec_lo, exec_lo, s8
	v_cmp_lt_u32_e64 s7, 31, v16
	v_add_nc_u32_e32 v24, 0xffffff80, v17
	s_barrier
	buffer_gl0_inv
	ds_store_b128 v18, v[0:3]
	s_waitcnt lgkmcnt(0)
	s_barrier
	buffer_gl0_inv
	s_and_saveexec_b32 s9, s7
	s_cbranch_execz .LBB66_29
; %bb.26:
	ds_load_b32 v9, v24
	s_mov_b32 s10, exec_lo
	s_waitcnt lgkmcnt(0)
	v_cmpx_eq_u32_e64 v8, v9
	s_cbranch_execz .LBB66_28
; %bb.27:
	v_add_nc_u32_e32 v9, 0xfffffe00, v18
	ds_load_b128 v[25:28], v9
	s_waitcnt lgkmcnt(0)
	v_add_f64 v[0:1], v[0:1], v[25:26]
	v_add_f64 v[2:3], v[2:3], v[27:28]
.LBB66_28:
	s_or_b32 exec_lo, exec_lo, s10
.LBB66_29:
	s_delay_alu instid0(SALU_CYCLE_1)
	s_or_b32 exec_lo, exec_lo, s9
	v_cmp_lt_u32_e64 s8, 63, v16
	v_add_nc_u32_e32 v25, 0xffffff00, v17
	s_barrier
	buffer_gl0_inv
	ds_store_b128 v18, v[0:3]
	s_waitcnt lgkmcnt(0)
	s_barrier
	buffer_gl0_inv
	s_and_saveexec_b32 s10, s8
	s_cbranch_execz .LBB66_33
; %bb.30:
	ds_load_b32 v9, v25
	s_mov_b32 s11, exec_lo
	s_waitcnt lgkmcnt(0)
	v_cmpx_eq_u32_e64 v8, v9
	s_cbranch_execz .LBB66_32
; %bb.31:
	v_add_nc_u32_e32 v9, 0xfffffc00, v18
	ds_load_b128 v[26:29], v9
	s_waitcnt lgkmcnt(0)
	v_add_f64 v[0:1], v[0:1], v[26:27]
	v_add_f64 v[2:3], v[2:3], v[28:29]
.LBB66_32:
	s_or_b32 exec_lo, exec_lo, s11
.LBB66_33:
	s_delay_alu instid0(SALU_CYCLE_1)
	s_or_b32 exec_lo, exec_lo, s10
	s_load_b64 s[26:27], s[2:3], 0x38
	v_cmp_lt_u32_e64 s9, 0x7f, v16
	v_add_nc_u32_e32 v26, 0xfffffe00, v17
	s_waitcnt lgkmcnt(0)
	s_barrier
	buffer_gl0_inv
	ds_store_b128 v18, v[0:3]
	s_waitcnt lgkmcnt(0)
	s_barrier
	buffer_gl0_inv
	s_and_saveexec_b32 s11, s9
	s_cbranch_execz .LBB66_37
; %bb.34:
	ds_load_b32 v9, v26
	s_mov_b32 s12, exec_lo
	s_waitcnt lgkmcnt(0)
	v_cmpx_eq_u32_e64 v8, v9
	s_cbranch_execz .LBB66_36
; %bb.35:
	v_add_nc_u32_e32 v9, 0xfffff800, v18
	ds_load_b128 v[27:30], v9
	s_waitcnt lgkmcnt(0)
	v_add_f64 v[0:1], v[0:1], v[27:28]
	v_add_f64 v[2:3], v[2:3], v[29:30]
.LBB66_36:
	s_or_b32 exec_lo, exec_lo, s12
.LBB66_37:
	s_delay_alu instid0(SALU_CYCLE_1)
	s_or_b32 exec_lo, exec_lo, s11
	v_cmp_gt_u32_e64 s10, 0xff, v16
	s_barrier
	buffer_gl0_inv
	ds_store_b128 v18, v[0:3]
	s_waitcnt lgkmcnt(0)
	s_barrier
	buffer_gl0_inv
	s_and_saveexec_b32 s13, s10
	s_cbranch_execz .LBB66_40
; %bb.38:
	ds_load_b32 v9, v17 offset:4
	v_cmp_lt_i32_e64 s12, -1, v8
	s_waitcnt lgkmcnt(0)
	v_cmp_ne_u32_e64 s11, v8, v9
	s_delay_alu instid0(VALU_DEP_1) | instskip(NEXT) | instid1(SALU_CYCLE_1)
	s_and_b32 s11, s12, s11
	s_and_b32 exec_lo, exec_lo, s11
	s_cbranch_execz .LBB66_40
; %bb.39:
	v_mov_b32_e32 v9, 0
	s_delay_alu instid0(VALU_DEP_1) | instskip(NEXT) | instid1(VALU_DEP_1)
	v_lshlrev_b64 v[12:13], 4, v[8:9]
	v_add_co_u32 v12, s11, s26, v12
	s_delay_alu instid0(VALU_DEP_1) | instskip(SKIP_4) | instid1(VALU_DEP_2)
	v_add_co_ci_u32_e64 v13, s11, s27, v13, s11
	global_load_b128 v[27:30], v[12:13], off
	s_waitcnt vmcnt(0)
	v_fma_f64 v[27:28], v[4:5], v[0:1], v[27:28]
	v_fma_f64 v[29:30], v[6:7], v[0:1], v[29:30]
	v_fma_f64 v[27:28], -v[6:7], v[2:3], v[27:28]
	s_delay_alu instid0(VALU_DEP_2)
	v_fma_f64 v[29:30], v[4:5], v[2:3], v[29:30]
	global_store_b128 v[12:13], v[27:30], off
.LBB66_40:
	s_or_b32 exec_lo, exec_lo, s13
	s_load_b128 s[12:15], s[2:3], 0x40
	s_cmp_lt_i32 s21, 2
	s_cbranch_scc1 .LBB66_87
; %bb.41:
	s_ashr_i32 s23, s22, 31
	v_add_nc_u32_e32 v27, -16, v18
	s_lshl_b64 s[2:3], s[22:23], 4
	v_subrev_nc_u32_e32 v28, 32, v18
	s_sub_u32 s11, s28, s2
	v_add_co_u32 v0, s2, 0x800, v10
	s_delay_alu instid0(VALU_DEP_1) | instskip(SKIP_1) | instid1(VALU_DEP_3)
	v_add_co_ci_u32_e64 v1, s2, 0, v11, s2
	v_subrev_nc_u32_e32 v29, 64, v18
	v_add_co_u32 v10, s2, s18, v0
	s_delay_alu instid0(VALU_DEP_1) | instskip(SKIP_1) | instid1(VALU_DEP_1)
	v_add_co_ci_u32_e64 v11, s2, s19, v1, s2
	v_add_co_u32 v12, s2, s16, v0
	v_add_co_ci_u32_e64 v13, s2, s17, v1, s2
	v_add_co_u32 v14, s2, 0x100, v14
	v_dual_mov_b32 v9, 0 :: v_dual_add_nc_u32 v30, 0xffffff80, v18
	v_add_nc_u32_e32 v31, 0xffffff00, v18
	v_add_nc_u32_e32 v32, 0xfffffe00, v18
	;; [unrolled: 1-line block ×4, first 2 shown]
	v_add_co_ci_u32_e64 v15, null, 0, 0, s2
	s_subb_u32 s18, s29, s3
	s_add_i32 s19, s21, -1
	s_mov_b32 s17, 0
	s_branch .LBB66_43
.LBB66_42:                              ;   in Loop: Header=BB66_43 Depth=1
	s_or_b32 exec_lo, exec_lo, s16
	v_add_co_u32 v10, s2, 0x800, v10
	s_delay_alu instid0(VALU_DEP_1) | instskip(SKIP_1) | instid1(VALU_DEP_1)
	v_add_co_ci_u32_e64 v11, s2, 0, v11, s2
	v_add_co_u32 v12, s2, 0x800, v12
	v_add_co_ci_u32_e64 v13, s2, 0, v13, s2
	v_add_co_u32 v14, s2, 0x100, v14
	s_delay_alu instid0(VALU_DEP_1) | instskip(SKIP_1) | instid1(SALU_CYCLE_1)
	v_add_co_ci_u32_e64 v15, s2, 0, v15, s2
	s_add_i32 s19, s19, -1
	s_cmp_eq_u32 s19, 0
	s_cbranch_scc1 .LBB66_87
.LBB66_43:                              ; =>This Inner Loop Header: Depth=1
	v_mov_b32_e32 v0, 0
	v_dual_mov_b32 v1, 0 :: v_dual_mov_b32 v8, -1
	s_mov_b32 s3, exec_lo
	s_delay_alu instid0(VALU_DEP_1)
	v_dual_mov_b32 v3, v1 :: v_dual_mov_b32 v2, v0
	v_cmpx_gt_i64_e64 s[24:25], v[14:15]
	s_cbranch_execz .LBB66_45
; %bb.44:                               ;   in Loop: Header=BB66_43 Depth=1
	global_load_b64 v[39:40], v[12:13], off slc dlc
	s_waitcnt vmcnt(0)
	v_ashrrev_i32_e32 v1, 31, v40
	v_mov_b32_e32 v0, v40
	v_subrev_nc_u32_e32 v8, s22, v39
	s_delay_alu instid0(VALU_DEP_2) | instskip(NEXT) | instid1(VALU_DEP_1)
	v_lshlrev_b64 v[0:1], 4, v[0:1]
	v_add_co_u32 v0, s2, s11, v0
	s_delay_alu instid0(VALU_DEP_1)
	v_add_co_ci_u32_e64 v1, s2, s18, v1, s2
	global_load_b128 v[35:38], v[0:1], off
	global_load_b64 v[0:1], v[10:11], off slc dlc
	s_waitcnt vmcnt(1)
	v_mul_f64 v[2:3], 0x80000000, v[37:38]
	s_waitcnt vmcnt(0)
	v_mul_f64 v[37:38], v[0:1], v[37:38]
	s_delay_alu instid0(VALU_DEP_2) | instskip(NEXT) | instid1(VALU_DEP_2)
	v_fma_f64 v[0:1], v[0:1], v[35:36], v[2:3]
	v_fma_f64 v[2:3], v[35:36], 0, v[37:38]
.LBB66_45:                              ;   in Loop: Header=BB66_43 Depth=1
	s_or_b32 exec_lo, exec_lo, s3
	s_and_saveexec_b32 s3, vcc_lo
	s_cbranch_execz .LBB66_52
; %bb.46:                               ;   in Loop: Header=BB66_43 Depth=1
	ds_load_b32 v35, v9 offset:5116
	s_waitcnt lgkmcnt(0)
	v_readfirstlane_b32 s16, v35
	v_cmp_ne_u32_e64 s2, v8, v35
	s_delay_alu instid0(VALU_DEP_1) | instskip(NEXT) | instid1(SALU_CYCLE_1)
	s_and_saveexec_b32 s21, s2
	s_xor_b32 s2, exec_lo, s21
	s_cbranch_execz .LBB66_49
; %bb.47:                               ;   in Loop: Header=BB66_43 Depth=1
	s_cmp_lt_i32 s16, 0
	s_cbranch_scc1 .LBB66_49
; %bb.48:                               ;   in Loop: Header=BB66_43 Depth=1
	s_lshl_b64 s[28:29], s[16:17], 4
	ds_load_b128 v[39:42], v9 offset:4080
	s_add_u32 s28, s26, s28
	s_addc_u32 s29, s27, s29
	global_load_b128 v[35:38], v9, s[28:29]
	s_waitcnt vmcnt(0) lgkmcnt(0)
	v_fma_f64 v[35:36], v[4:5], v[39:40], v[35:36]
	v_fma_f64 v[37:38], v[6:7], v[39:40], v[37:38]
	s_delay_alu instid0(VALU_DEP_2) | instskip(NEXT) | instid1(VALU_DEP_2)
	v_fma_f64 v[35:36], -v[6:7], v[41:42], v[35:36]
	v_fma_f64 v[37:38], v[4:5], v[41:42], v[37:38]
	global_store_b128 v9, v[35:38], s[28:29]
.LBB66_49:                              ;   in Loop: Header=BB66_43 Depth=1
	s_and_not1_saveexec_b32 s2, s2
	s_cbranch_execz .LBB66_51
; %bb.50:                               ;   in Loop: Header=BB66_43 Depth=1
	ds_load_b128 v[35:38], v9 offset:4080
	s_waitcnt lgkmcnt(0)
	v_add_f64 v[0:1], v[0:1], v[35:36]
	v_add_f64 v[2:3], v[2:3], v[37:38]
.LBB66_51:                              ;   in Loop: Header=BB66_43 Depth=1
	s_or_b32 exec_lo, exec_lo, s2
.LBB66_52:                              ;   in Loop: Header=BB66_43 Depth=1
	s_delay_alu instid0(SALU_CYCLE_1)
	s_or_b32 exec_lo, exec_lo, s3
	s_waitcnt lgkmcnt(0)
	s_waitcnt_vscnt null, 0x0
	s_barrier
	buffer_gl0_inv
	ds_store_b32 v17, v8
	ds_store_b128 v18, v[0:3]
	s_waitcnt lgkmcnt(0)
	s_barrier
	buffer_gl0_inv
	s_and_saveexec_b32 s3, s0
	s_cbranch_execz .LBB66_56
; %bb.53:                               ;   in Loop: Header=BB66_43 Depth=1
	ds_load_b32 v35, v19
	s_mov_b32 s16, exec_lo
	s_waitcnt lgkmcnt(0)
	v_cmpx_eq_u32_e64 v8, v35
	s_cbranch_execz .LBB66_55
; %bb.54:                               ;   in Loop: Header=BB66_43 Depth=1
	ds_load_b128 v[35:38], v27
	s_waitcnt lgkmcnt(0)
	v_add_f64 v[0:1], v[0:1], v[35:36]
	v_add_f64 v[2:3], v[2:3], v[37:38]
.LBB66_55:                              ;   in Loop: Header=BB66_43 Depth=1
	s_or_b32 exec_lo, exec_lo, s16
.LBB66_56:                              ;   in Loop: Header=BB66_43 Depth=1
	s_delay_alu instid0(SALU_CYCLE_1)
	s_or_b32 exec_lo, exec_lo, s3
	s_barrier
	buffer_gl0_inv
	ds_store_b128 v18, v[0:3]
	s_waitcnt lgkmcnt(0)
	s_barrier
	buffer_gl0_inv
	s_and_saveexec_b32 s3, s1
	s_cbranch_execz .LBB66_60
; %bb.57:                               ;   in Loop: Header=BB66_43 Depth=1
	ds_load_b32 v35, v20
	s_mov_b32 s16, exec_lo
	s_waitcnt lgkmcnt(0)
	v_cmpx_eq_u32_e64 v8, v35
	s_cbranch_execz .LBB66_59
; %bb.58:                               ;   in Loop: Header=BB66_43 Depth=1
	ds_load_b128 v[35:38], v28
	s_waitcnt lgkmcnt(0)
	v_add_f64 v[0:1], v[0:1], v[35:36]
	v_add_f64 v[2:3], v[2:3], v[37:38]
.LBB66_59:                              ;   in Loop: Header=BB66_43 Depth=1
	s_or_b32 exec_lo, exec_lo, s16
.LBB66_60:                              ;   in Loop: Header=BB66_43 Depth=1
	s_delay_alu instid0(SALU_CYCLE_1)
	s_or_b32 exec_lo, exec_lo, s3
	s_barrier
	buffer_gl0_inv
	;; [unrolled: 24-line block ×8, first 2 shown]
	ds_store_b128 v18, v[0:3]
	s_waitcnt lgkmcnt(0)
	s_barrier
	buffer_gl0_inv
	s_and_saveexec_b32 s16, s10
	s_cbranch_execz .LBB66_42
; %bb.85:                               ;   in Loop: Header=BB66_43 Depth=1
	ds_load_b32 v35, v17 offset:4
	v_cmp_lt_i32_e64 s3, -1, v8
	s_waitcnt lgkmcnt(0)
	v_cmp_ne_u32_e64 s2, v8, v35
	s_delay_alu instid0(VALU_DEP_1) | instskip(NEXT) | instid1(SALU_CYCLE_1)
	s_and_b32 s2, s3, s2
	s_and_b32 exec_lo, exec_lo, s2
	s_cbranch_execz .LBB66_42
; %bb.86:                               ;   in Loop: Header=BB66_43 Depth=1
	v_lshlrev_b64 v[35:36], 4, v[8:9]
	s_delay_alu instid0(VALU_DEP_1) | instskip(NEXT) | instid1(VALU_DEP_1)
	v_add_co_u32 v39, s2, s26, v35
	v_add_co_ci_u32_e64 v40, s2, s27, v36, s2
	global_load_b128 v[35:38], v[39:40], off
	s_waitcnt vmcnt(0)
	v_fma_f64 v[35:36], v[4:5], v[0:1], v[35:36]
	v_fma_f64 v[37:38], v[6:7], v[0:1], v[37:38]
	s_delay_alu instid0(VALU_DEP_2) | instskip(NEXT) | instid1(VALU_DEP_2)
	v_fma_f64 v[35:36], -v[6:7], v[2:3], v[35:36]
	v_fma_f64 v[37:38], v[4:5], v[2:3], v[37:38]
	global_store_b128 v[39:40], v[35:38], off
	s_branch .LBB66_42
.LBB66_87:
	v_cmp_eq_u32_e32 vcc_lo, 0xff, v16
	s_and_b32 exec_lo, exec_lo, vcc_lo
	s_cbranch_execz .LBB66_89
; %bb.88:
	v_mul_f64 v[9:10], v[2:3], -v[6:7]
	v_mul_f64 v[11:12], v[4:5], v[2:3]
	s_mov_b32 s21, 0
	s_delay_alu instid0(SALU_CYCLE_1) | instskip(SKIP_4) | instid1(SALU_CYCLE_1)
	s_lshl_b64 s[0:1], s[20:21], 2
	s_waitcnt lgkmcnt(0)
	s_add_u32 s0, s12, s0
	s_addc_u32 s1, s13, s1
	s_lshl_b64 s[2:3], s[20:21], 4
	s_add_u32 s2, s14, s2
	s_addc_u32 s3, s15, s3
	s_delay_alu instid0(VALU_DEP_2) | instskip(NEXT) | instid1(VALU_DEP_2)
	v_fma_f64 v[2:3], v[4:5], v[0:1], v[9:10]
	v_fma_f64 v[4:5], v[6:7], v[0:1], v[11:12]
	v_mov_b32_e32 v0, 0
	s_clause 0x1
	global_store_b32 v0, v8, s[0:1] glc slc dlc
	global_store_b128 v0, v[2:5], s[2:3] glc slc dlc
.LBB66_89:
	s_nop 0
	s_sendmsg sendmsg(MSG_DEALLOC_VGPRS)
	s_endpgm
	.section	.rodata,"a",@progbits
	.p2align	6, 0x0
	.amdhsa_kernel _ZN9rocsparseL26coomvn_aos_segmented_loopsILj256Eid21rocsparse_complex_numIdES2_S2_EEvlT0_NS_24const_host_device_scalarIT4_EEPKS3_PKT1_PKT2_PT3_PS3_PS5_21rocsparse_index_base_b
		.amdhsa_group_segment_fixed_size 7168
		.amdhsa_private_segment_fixed_size 0
		.amdhsa_kernarg_size 88
		.amdhsa_user_sgpr_count 15
		.amdhsa_user_sgpr_dispatch_ptr 1
		.amdhsa_user_sgpr_queue_ptr 0
		.amdhsa_user_sgpr_kernarg_segment_ptr 1
		.amdhsa_user_sgpr_dispatch_id 0
		.amdhsa_user_sgpr_private_segment_size 0
		.amdhsa_wavefront_size32 1
		.amdhsa_uses_dynamic_stack 0
		.amdhsa_enable_private_segment 0
		.amdhsa_system_sgpr_workgroup_id_x 1
		.amdhsa_system_sgpr_workgroup_id_y 0
		.amdhsa_system_sgpr_workgroup_id_z 0
		.amdhsa_system_sgpr_workgroup_info 0
		.amdhsa_system_vgpr_workitem_id 2
		.amdhsa_next_free_vgpr 43
		.amdhsa_next_free_sgpr 30
		.amdhsa_reserve_vcc 1
		.amdhsa_float_round_mode_32 0
		.amdhsa_float_round_mode_16_64 0
		.amdhsa_float_denorm_mode_32 3
		.amdhsa_float_denorm_mode_16_64 3
		.amdhsa_dx10_clamp 1
		.amdhsa_ieee_mode 1
		.amdhsa_fp16_overflow 0
		.amdhsa_workgroup_processor_mode 1
		.amdhsa_memory_ordered 1
		.amdhsa_forward_progress 0
		.amdhsa_shared_vgpr_count 0
		.amdhsa_exception_fp_ieee_invalid_op 0
		.amdhsa_exception_fp_denorm_src 0
		.amdhsa_exception_fp_ieee_div_zero 0
		.amdhsa_exception_fp_ieee_overflow 0
		.amdhsa_exception_fp_ieee_underflow 0
		.amdhsa_exception_fp_ieee_inexact 0
		.amdhsa_exception_int_div_zero 0
	.end_amdhsa_kernel
	.section	.text._ZN9rocsparseL26coomvn_aos_segmented_loopsILj256Eid21rocsparse_complex_numIdES2_S2_EEvlT0_NS_24const_host_device_scalarIT4_EEPKS3_PKT1_PKT2_PT3_PS3_PS5_21rocsparse_index_base_b,"axG",@progbits,_ZN9rocsparseL26coomvn_aos_segmented_loopsILj256Eid21rocsparse_complex_numIdES2_S2_EEvlT0_NS_24const_host_device_scalarIT4_EEPKS3_PKT1_PKT2_PT3_PS3_PS5_21rocsparse_index_base_b,comdat
.Lfunc_end66:
	.size	_ZN9rocsparseL26coomvn_aos_segmented_loopsILj256Eid21rocsparse_complex_numIdES2_S2_EEvlT0_NS_24const_host_device_scalarIT4_EEPKS3_PKT1_PKT2_PT3_PS3_PS5_21rocsparse_index_base_b, .Lfunc_end66-_ZN9rocsparseL26coomvn_aos_segmented_loopsILj256Eid21rocsparse_complex_numIdES2_S2_EEvlT0_NS_24const_host_device_scalarIT4_EEPKS3_PKT1_PKT2_PT3_PS3_PS5_21rocsparse_index_base_b
                                        ; -- End function
	.section	.AMDGPU.csdata,"",@progbits
; Kernel info:
; codeLenInByte = 3616
; NumSgprs: 32
; NumVgprs: 43
; ScratchSize: 0
; MemoryBound: 1
; FloatMode: 240
; IeeeMode: 1
; LDSByteSize: 7168 bytes/workgroup (compile time only)
; SGPRBlocks: 3
; VGPRBlocks: 5
; NumSGPRsForWavesPerEU: 32
; NumVGPRsForWavesPerEU: 43
; Occupancy: 16
; WaveLimiterHint : 1
; COMPUTE_PGM_RSRC2:SCRATCH_EN: 0
; COMPUTE_PGM_RSRC2:USER_SGPR: 15
; COMPUTE_PGM_RSRC2:TRAP_HANDLER: 0
; COMPUTE_PGM_RSRC2:TGID_X_EN: 1
; COMPUTE_PGM_RSRC2:TGID_Y_EN: 0
; COMPUTE_PGM_RSRC2:TGID_Z_EN: 0
; COMPUTE_PGM_RSRC2:TIDIG_COMP_CNT: 2
	.section	.text._ZN9rocsparseL23coomvn_aos_atomic_loopsILj256ELj1Eld21rocsparse_complex_numIdES2_S2_EEvlNS_24const_host_device_scalarIT5_EEPKT1_PKT2_PKT3_PT4_21rocsparse_index_base_b,"axG",@progbits,_ZN9rocsparseL23coomvn_aos_atomic_loopsILj256ELj1Eld21rocsparse_complex_numIdES2_S2_EEvlNS_24const_host_device_scalarIT5_EEPKT1_PKT2_PKT3_PT4_21rocsparse_index_base_b,comdat
	.globl	_ZN9rocsparseL23coomvn_aos_atomic_loopsILj256ELj1Eld21rocsparse_complex_numIdES2_S2_EEvlNS_24const_host_device_scalarIT5_EEPKT1_PKT2_PKT3_PT4_21rocsparse_index_base_b ; -- Begin function _ZN9rocsparseL23coomvn_aos_atomic_loopsILj256ELj1Eld21rocsparse_complex_numIdES2_S2_EEvlNS_24const_host_device_scalarIT5_EEPKT1_PKT2_PKT3_PT4_21rocsparse_index_base_b
	.p2align	8
	.type	_ZN9rocsparseL23coomvn_aos_atomic_loopsILj256ELj1Eld21rocsparse_complex_numIdES2_S2_EEvlNS_24const_host_device_scalarIT5_EEPKT1_PKT2_PKT3_PT4_21rocsparse_index_base_b,@function
_ZN9rocsparseL23coomvn_aos_atomic_loopsILj256ELj1Eld21rocsparse_complex_numIdES2_S2_EEvlNS_24const_host_device_scalarIT5_EEPKT1_PKT2_PKT3_PT4_21rocsparse_index_base_b: ; @_ZN9rocsparseL23coomvn_aos_atomic_loopsILj256ELj1Eld21rocsparse_complex_numIdES2_S2_EEvlNS_24const_host_device_scalarIT5_EEPKT1_PKT2_PKT3_PT4_21rocsparse_index_base_b
; %bb.0:
	s_load_b64 s[0:1], s[0:1], 0x4
	s_clause 0x1
	s_load_b128 s[4:7], s[2:3], 0x0
	s_load_b64 s[10:11], s[2:3], 0x10
	v_and_b32_e32 v18, 0x3ff, v0
	s_load_b64 s[8:9], s[2:3], 0x38
	v_bfe_u32 v2, v0, 10, 10
	v_bfe_u32 v0, v0, 20, 10
	s_waitcnt lgkmcnt(0)
	s_lshr_b32 s0, s0, 16
	v_mov_b32_e32 v10, s10
	s_mul_i32 s0, s0, s1
	s_and_b32 s9, 1, s9
	v_mul_lo_u32 v1, s0, v18
	s_cmp_eq_u32 s9, 1
	v_mov_b32_e32 v11, s11
	s_cselect_b32 vcc_lo, -1, 0
	s_delay_alu instid0(VALU_DEP_2) | instskip(SKIP_2) | instid1(VALU_DEP_2)
	v_mad_u32_u24 v1, v2, s1, v1
	s_mov_b64 s[0:1], src_shared_base
	v_dual_mov_b32 v2, s6 :: v_dual_mov_b32 v3, s7
	v_add_lshl_u32 v4, v1, v0, 3
	s_delay_alu instid0(VALU_DEP_1) | instskip(SKIP_4) | instid1(SALU_CYCLE_1)
	v_add_nc_u32_e32 v0, 0x1800, v4
	ds_store_b64 v4, v[2:3] offset:6144
	v_cndmask_b32_e32 v0, s6, v0, vcc_lo
	s_and_b32 vcc_lo, exec_lo, vcc_lo
	s_cselect_b32 s0, s1, s7
	v_mov_b32_e32 v1, s0
	flat_load_b64 v[8:9], v[0:1]
	s_cbranch_vccnz .LBB67_2
; %bb.1:
	v_dual_mov_b32 v0, s6 :: v_dual_mov_b32 v1, s7
	flat_load_b64 v[10:11], v[0:1] offset:8
.LBB67_2:
	s_waitcnt vmcnt(0) lgkmcnt(0)
	v_cmp_neq_f64_e32 vcc_lo, 0, v[8:9]
	v_cmp_neq_f64_e64 s0, 0, v[10:11]
	s_delay_alu instid0(VALU_DEP_1) | instskip(NEXT) | instid1(SALU_CYCLE_1)
	s_or_b32 s0, vcc_lo, s0
	s_and_saveexec_b32 s1, s0
	s_cbranch_execz .LBB67_48
; %bb.3:
	v_dual_mov_b32 v5, 0 :: v_dual_mov_b32 v0, 0
	v_dual_mov_b32 v1, 0 :: v_dual_mov_b32 v12, -1
	v_lshl_or_b32 v4, s15, 8, v18
	v_mov_b32_e32 v13, -1
	s_mov_b32 s0, exec_lo
	s_delay_alu instid0(VALU_DEP_3) | instskip(NEXT) | instid1(VALU_DEP_3)
	v_dual_mov_b32 v3, v1 :: v_dual_mov_b32 v2, v0
	v_cmpx_gt_i64_e64 s[4:5], v[4:5]
	s_cbranch_execz .LBB67_5
; %bb.4:
	s_clause 0x1
	s_load_b128 s[4:7], s[2:3], 0x18
	s_load_b64 s[10:11], s[2:3], 0x28
	v_lshlrev_b64 v[0:1], 4, v[4:5]
	v_lshlrev_b64 v[2:3], 3, v[4:5]
	s_waitcnt lgkmcnt(0)
	s_delay_alu instid0(VALU_DEP_2) | instskip(NEXT) | instid1(VALU_DEP_3)
	v_add_co_u32 v0, vcc_lo, s4, v0
	v_add_co_ci_u32_e32 v1, vcc_lo, s5, v1, vcc_lo
	global_load_b128 v[12:15], v[0:1], off slc dlc
	s_waitcnt vmcnt(0)
	v_sub_co_u32 v0, vcc_lo, v14, s8
	v_subrev_co_ci_u32_e32 v1, vcc_lo, 0, v15, vcc_lo
	s_delay_alu instid0(VALU_DEP_1) | instskip(NEXT) | instid1(VALU_DEP_1)
	v_lshlrev_b64 v[0:1], 4, v[0:1]
	v_add_co_u32 v0, vcc_lo, s10, v0
	s_delay_alu instid0(VALU_DEP_2)
	v_add_co_ci_u32_e32 v1, vcc_lo, s11, v1, vcc_lo
	v_add_co_u32 v6, vcc_lo, s6, v2
	v_add_co_ci_u32_e32 v7, vcc_lo, s7, v3, vcc_lo
	v_sub_co_u32 v12, vcc_lo, v12, s8
	global_load_b128 v[2:5], v[0:1], off
	global_load_b64 v[0:1], v[6:7], off slc dlc
	v_subrev_co_ci_u32_e32 v13, vcc_lo, 0, v13, vcc_lo
	s_waitcnt vmcnt(1)
	v_mul_f64 v[6:7], 0x80000000, v[4:5]
	s_waitcnt vmcnt(0)
	v_mul_f64 v[4:5], v[0:1], v[4:5]
	s_delay_alu instid0(VALU_DEP_2) | instskip(NEXT) | instid1(VALU_DEP_2)
	v_fma_f64 v[0:1], v[0:1], v[2:3], v[6:7]
	v_fma_f64 v[2:3], v[2:3], 0, v[4:5]
.LBB67_5:
	s_or_b32 exec_lo, exec_lo, s0
	v_lshlrev_b32_e32 v6, 3, v18
	v_lshlrev_b32_e32 v4, 4, v18
	s_mov_b32 s0, exec_lo
	ds_store_b64 v6, v[12:13] offset:4096
	ds_store_b128 v4, v[0:3]
	v_or_b32_e32 v5, 0x1000, v6
	s_waitcnt lgkmcnt(0)
	s_barrier
	buffer_gl0_inv
	v_cmpx_ne_u32_e32 0, v18
	s_cbranch_execz .LBB67_9
; %bb.6:
	v_add_nc_u32_e32 v6, -8, v5
	s_mov_b32 s1, exec_lo
	ds_load_b64 v[6:7], v6
	s_waitcnt lgkmcnt(0)
	v_cmpx_eq_u64_e64 v[12:13], v[6:7]
	s_cbranch_execz .LBB67_8
; %bb.7:
	v_add_nc_u32_e32 v6, -16, v4
	ds_load_b128 v[14:17], v6
	s_waitcnt lgkmcnt(0)
	v_add_f64 v[0:1], v[0:1], v[14:15]
	v_add_f64 v[2:3], v[2:3], v[16:17]
.LBB67_8:
	s_or_b32 exec_lo, exec_lo, s1
.LBB67_9:
	s_delay_alu instid0(SALU_CYCLE_1) | instskip(NEXT) | instid1(SALU_CYCLE_1)
	s_or_b32 exec_lo, exec_lo, s0
	s_mov_b32 s0, exec_lo
	s_barrier
	buffer_gl0_inv
	ds_store_b128 v4, v[0:3]
	s_waitcnt lgkmcnt(0)
	s_barrier
	buffer_gl0_inv
	v_cmpx_lt_u32_e32 1, v18
	s_cbranch_execz .LBB67_13
; %bb.10:
	v_add_nc_u32_e32 v6, -16, v5
	s_mov_b32 s1, exec_lo
	ds_load_b64 v[6:7], v6
	s_waitcnt lgkmcnt(0)
	v_cmpx_eq_u64_e64 v[12:13], v[6:7]
	s_cbranch_execz .LBB67_12
; %bb.11:
	v_subrev_nc_u32_e32 v6, 32, v4
	ds_load_b128 v[14:17], v6
	s_waitcnt lgkmcnt(0)
	v_add_f64 v[0:1], v[0:1], v[14:15]
	v_add_f64 v[2:3], v[2:3], v[16:17]
.LBB67_12:
	s_or_b32 exec_lo, exec_lo, s1
.LBB67_13:
	s_delay_alu instid0(SALU_CYCLE_1) | instskip(NEXT) | instid1(SALU_CYCLE_1)
	s_or_b32 exec_lo, exec_lo, s0
	s_mov_b32 s0, exec_lo
	s_barrier
	buffer_gl0_inv
	ds_store_b128 v4, v[0:3]
	s_waitcnt lgkmcnt(0)
	s_barrier
	buffer_gl0_inv
	v_cmpx_lt_u32_e32 3, v18
	s_cbranch_execz .LBB67_17
; %bb.14:
	v_subrev_nc_u32_e32 v6, 32, v5
	s_mov_b32 s1, exec_lo
	ds_load_b64 v[6:7], v6
	s_waitcnt lgkmcnt(0)
	v_cmpx_eq_u64_e64 v[12:13], v[6:7]
	s_cbranch_execz .LBB67_16
; %bb.15:
	v_subrev_nc_u32_e32 v6, 64, v4
	ds_load_b128 v[14:17], v6
	s_waitcnt lgkmcnt(0)
	v_add_f64 v[0:1], v[0:1], v[14:15]
	v_add_f64 v[2:3], v[2:3], v[16:17]
.LBB67_16:
	s_or_b32 exec_lo, exec_lo, s1
.LBB67_17:
	s_delay_alu instid0(SALU_CYCLE_1) | instskip(NEXT) | instid1(SALU_CYCLE_1)
	s_or_b32 exec_lo, exec_lo, s0
	s_mov_b32 s0, exec_lo
	s_barrier
	buffer_gl0_inv
	ds_store_b128 v4, v[0:3]
	s_waitcnt lgkmcnt(0)
	s_barrier
	buffer_gl0_inv
	v_cmpx_lt_u32_e32 7, v18
	s_cbranch_execz .LBB67_21
; %bb.18:
	v_subrev_nc_u32_e32 v6, 64, v5
	s_mov_b32 s1, exec_lo
	ds_load_b64 v[6:7], v6
	s_waitcnt lgkmcnt(0)
	v_cmpx_eq_u64_e64 v[12:13], v[6:7]
	s_cbranch_execz .LBB67_20
; %bb.19:
	v_add_nc_u32_e32 v6, 0xffffff80, v4
	ds_load_b128 v[14:17], v6
	s_waitcnt lgkmcnt(0)
	v_add_f64 v[0:1], v[0:1], v[14:15]
	v_add_f64 v[2:3], v[2:3], v[16:17]
.LBB67_20:
	s_or_b32 exec_lo, exec_lo, s1
.LBB67_21:
	s_delay_alu instid0(SALU_CYCLE_1) | instskip(NEXT) | instid1(SALU_CYCLE_1)
	s_or_b32 exec_lo, exec_lo, s0
	s_mov_b32 s0, exec_lo
	s_barrier
	buffer_gl0_inv
	ds_store_b128 v4, v[0:3]
	s_waitcnt lgkmcnt(0)
	s_barrier
	buffer_gl0_inv
	v_cmpx_lt_u32_e32 15, v18
	s_cbranch_execz .LBB67_25
; %bb.22:
	v_add_nc_u32_e32 v6, 0xffffff80, v5
	s_mov_b32 s1, exec_lo
	ds_load_b64 v[6:7], v6
	s_waitcnt lgkmcnt(0)
	v_cmpx_eq_u64_e64 v[12:13], v[6:7]
	s_cbranch_execz .LBB67_24
; %bb.23:
	v_add_nc_u32_e32 v6, 0xffffff00, v4
	ds_load_b128 v[14:17], v6
	s_waitcnt lgkmcnt(0)
	v_add_f64 v[0:1], v[0:1], v[14:15]
	v_add_f64 v[2:3], v[2:3], v[16:17]
.LBB67_24:
	s_or_b32 exec_lo, exec_lo, s1
.LBB67_25:
	s_delay_alu instid0(SALU_CYCLE_1) | instskip(NEXT) | instid1(SALU_CYCLE_1)
	s_or_b32 exec_lo, exec_lo, s0
	s_mov_b32 s0, exec_lo
	s_barrier
	buffer_gl0_inv
	ds_store_b128 v4, v[0:3]
	s_waitcnt lgkmcnt(0)
	s_barrier
	buffer_gl0_inv
	v_cmpx_lt_u32_e32 31, v18
	s_cbranch_execz .LBB67_29
; %bb.26:
	v_add_nc_u32_e32 v6, 0xffffff00, v5
	s_mov_b32 s1, exec_lo
	ds_load_b64 v[6:7], v6
	s_waitcnt lgkmcnt(0)
	v_cmpx_eq_u64_e64 v[12:13], v[6:7]
	s_cbranch_execz .LBB67_28
; %bb.27:
	v_add_nc_u32_e32 v6, 0xfffffe00, v4
	ds_load_b128 v[14:17], v6
	s_waitcnt lgkmcnt(0)
	v_add_f64 v[0:1], v[0:1], v[14:15]
	v_add_f64 v[2:3], v[2:3], v[16:17]
.LBB67_28:
	s_or_b32 exec_lo, exec_lo, s1
.LBB67_29:
	;; [unrolled: 27-line block ×3, first 2 shown]
	s_delay_alu instid0(SALU_CYCLE_1)
	s_or_b32 exec_lo, exec_lo, s0
	s_load_b64 s[2:3], s[2:3], 0x30
	s_mov_b32 s0, exec_lo
	s_waitcnt lgkmcnt(0)
	s_barrier
	buffer_gl0_inv
	ds_store_b128 v4, v[0:3]
	s_waitcnt lgkmcnt(0)
	s_barrier
	buffer_gl0_inv
	v_cmpx_lt_u32_e32 0x7f, v18
	s_cbranch_execz .LBB67_37
; %bb.34:
	v_add_nc_u32_e32 v6, 0xfffffc00, v5
	s_mov_b32 s1, exec_lo
	ds_load_b64 v[6:7], v6
	s_waitcnt lgkmcnt(0)
	v_cmpx_eq_u64_e64 v[12:13], v[6:7]
	s_cbranch_execz .LBB67_36
; %bb.35:
	v_add_nc_u32_e32 v6, 0xfffff800, v4
	ds_load_b128 v[14:17], v6
	s_waitcnt lgkmcnt(0)
	v_add_f64 v[0:1], v[0:1], v[14:15]
	v_add_f64 v[2:3], v[2:3], v[16:17]
.LBB67_36:
	s_or_b32 exec_lo, exec_lo, s1
.LBB67_37:
	s_delay_alu instid0(SALU_CYCLE_1) | instskip(NEXT) | instid1(SALU_CYCLE_1)
	s_or_b32 exec_lo, exec_lo, s0
	s_mov_b32 s1, exec_lo
	s_barrier
	buffer_gl0_inv
	ds_store_b128 v4, v[0:3]
	s_waitcnt lgkmcnt(0)
	s_barrier
	buffer_gl0_inv
	v_cmpx_gt_u32_e32 0xff, v18
	s_cbranch_execz .LBB67_43
; %bb.38:
	ds_load_b64 v[4:5], v5 offset:8
	v_cmp_lt_i64_e64 s0, -1, v[12:13]
	s_waitcnt lgkmcnt(0)
	v_cmp_ne_u64_e32 vcc_lo, v[12:13], v[4:5]
	s_delay_alu instid0(VALU_DEP_2) | instskip(NEXT) | instid1(SALU_CYCLE_1)
	s_and_b32 s0, s0, vcc_lo
	s_and_b32 exec_lo, exec_lo, s0
	s_cbranch_execz .LBB67_43
; %bb.39:
	v_lshlrev_b64 v[4:5], 4, v[12:13]
	s_mov_b32 s0, 0
	s_delay_alu instid0(VALU_DEP_1) | instskip(NEXT) | instid1(VALU_DEP_2)
	v_add_co_u32 v14, vcc_lo, s2, v4
	v_add_co_ci_u32_e32 v15, vcc_lo, s3, v5, vcc_lo
	v_mul_f64 v[4:5], v[2:3], -v[10:11]
	global_load_b64 v[6:7], v[14:15], off
	v_fma_f64 v[16:17], v[8:9], v[0:1], v[4:5]
.LBB67_40:                              ; =>This Inner Loop Header: Depth=1
	s_waitcnt vmcnt(0)
	s_delay_alu instid0(VALU_DEP_1)
	v_add_f64 v[4:5], v[6:7], v[16:17]
	global_atomic_cmpswap_b64 v[4:5], v[14:15], v[4:7], off glc
	s_waitcnt vmcnt(0)
	v_cmp_eq_u64_e32 vcc_lo, v[4:5], v[6:7]
	v_dual_mov_b32 v7, v5 :: v_dual_mov_b32 v6, v4
	s_or_b32 s0, vcc_lo, s0
	s_delay_alu instid0(SALU_CYCLE_1)
	s_and_not1_b32 exec_lo, exec_lo, s0
	s_cbranch_execnz .LBB67_40
; %bb.41:
	s_or_b32 exec_lo, exec_lo, s0
	global_load_b64 v[6:7], v[14:15], off offset:8
	v_mul_f64 v[4:5], v[8:9], v[2:3]
	s_mov_b32 s0, 0
	s_delay_alu instid0(VALU_DEP_1)
	v_fma_f64 v[16:17], v[10:11], v[0:1], v[4:5]
.LBB67_42:                              ; =>This Inner Loop Header: Depth=1
	s_waitcnt vmcnt(0)
	s_delay_alu instid0(VALU_DEP_1)
	v_add_f64 v[4:5], v[6:7], v[16:17]
	global_atomic_cmpswap_b64 v[4:5], v[14:15], v[4:7], off offset:8 glc
	s_waitcnt vmcnt(0)
	v_cmp_eq_u64_e32 vcc_lo, v[4:5], v[6:7]
	v_dual_mov_b32 v7, v5 :: v_dual_mov_b32 v6, v4
	s_or_b32 s0, vcc_lo, s0
	s_delay_alu instid0(SALU_CYCLE_1)
	s_and_not1_b32 exec_lo, exec_lo, s0
	s_cbranch_execnz .LBB67_42
.LBB67_43:
	s_or_b32 exec_lo, exec_lo, s1
	v_cmp_lt_i64_e32 vcc_lo, -1, v[12:13]
	v_cmp_eq_u32_e64 s0, 0xff, v18
	s_delay_alu instid0(VALU_DEP_1) | instskip(NEXT) | instid1(SALU_CYCLE_1)
	s_and_b32 s0, s0, vcc_lo
	s_and_b32 exec_lo, exec_lo, s0
	s_cbranch_execz .LBB67_48
; %bb.44:
	v_lshlrev_b64 v[4:5], 4, v[12:13]
	s_mov_b32 s0, 0
	s_delay_alu instid0(VALU_DEP_1) | instskip(NEXT) | instid1(VALU_DEP_2)
	v_add_co_u32 v12, vcc_lo, s2, v4
	v_add_co_ci_u32_e32 v13, vcc_lo, s3, v5, vcc_lo
	v_mul_f64 v[4:5], v[2:3], -v[10:11]
	global_load_b64 v[6:7], v[12:13], off
	v_fma_f64 v[14:15], v[8:9], v[0:1], v[4:5]
.LBB67_45:                              ; =>This Inner Loop Header: Depth=1
	s_waitcnt vmcnt(0)
	s_delay_alu instid0(VALU_DEP_1)
	v_add_f64 v[4:5], v[6:7], v[14:15]
	global_atomic_cmpswap_b64 v[4:5], v[12:13], v[4:7], off glc
	s_waitcnt vmcnt(0)
	v_cmp_eq_u64_e32 vcc_lo, v[4:5], v[6:7]
	v_dual_mov_b32 v7, v5 :: v_dual_mov_b32 v6, v4
	s_or_b32 s0, vcc_lo, s0
	s_delay_alu instid0(SALU_CYCLE_1)
	s_and_not1_b32 exec_lo, exec_lo, s0
	s_cbranch_execnz .LBB67_45
; %bb.46:
	s_or_b32 exec_lo, exec_lo, s0
	global_load_b64 v[4:5], v[12:13], off offset:8
	v_mul_f64 v[2:3], v[8:9], v[2:3]
	s_mov_b32 s0, 0
	s_delay_alu instid0(VALU_DEP_1)
	v_fma_f64 v[0:1], v[10:11], v[0:1], v[2:3]
.LBB67_47:                              ; =>This Inner Loop Header: Depth=1
	s_waitcnt vmcnt(0)
	s_delay_alu instid0(VALU_DEP_1)
	v_add_f64 v[2:3], v[4:5], v[0:1]
	global_atomic_cmpswap_b64 v[2:3], v[12:13], v[2:5], off offset:8 glc
	s_waitcnt vmcnt(0)
	v_cmp_eq_u64_e32 vcc_lo, v[2:3], v[4:5]
	v_dual_mov_b32 v5, v3 :: v_dual_mov_b32 v4, v2
	s_or_b32 s0, vcc_lo, s0
	s_delay_alu instid0(SALU_CYCLE_1)
	s_and_not1_b32 exec_lo, exec_lo, s0
	s_cbranch_execnz .LBB67_47
.LBB67_48:
	s_endpgm
	.section	.rodata,"a",@progbits
	.p2align	6, 0x0
	.amdhsa_kernel _ZN9rocsparseL23coomvn_aos_atomic_loopsILj256ELj1Eld21rocsparse_complex_numIdES2_S2_EEvlNS_24const_host_device_scalarIT5_EEPKT1_PKT2_PKT3_PT4_21rocsparse_index_base_b
		.amdhsa_group_segment_fixed_size 8192
		.amdhsa_private_segment_fixed_size 0
		.amdhsa_kernarg_size 64
		.amdhsa_user_sgpr_count 15
		.amdhsa_user_sgpr_dispatch_ptr 1
		.amdhsa_user_sgpr_queue_ptr 0
		.amdhsa_user_sgpr_kernarg_segment_ptr 1
		.amdhsa_user_sgpr_dispatch_id 0
		.amdhsa_user_sgpr_private_segment_size 0
		.amdhsa_wavefront_size32 1
		.amdhsa_uses_dynamic_stack 0
		.amdhsa_enable_private_segment 0
		.amdhsa_system_sgpr_workgroup_id_x 1
		.amdhsa_system_sgpr_workgroup_id_y 0
		.amdhsa_system_sgpr_workgroup_id_z 0
		.amdhsa_system_sgpr_workgroup_info 0
		.amdhsa_system_vgpr_workitem_id 2
		.amdhsa_next_free_vgpr 19
		.amdhsa_next_free_sgpr 16
		.amdhsa_reserve_vcc 1
		.amdhsa_float_round_mode_32 0
		.amdhsa_float_round_mode_16_64 0
		.amdhsa_float_denorm_mode_32 3
		.amdhsa_float_denorm_mode_16_64 3
		.amdhsa_dx10_clamp 1
		.amdhsa_ieee_mode 1
		.amdhsa_fp16_overflow 0
		.amdhsa_workgroup_processor_mode 1
		.amdhsa_memory_ordered 1
		.amdhsa_forward_progress 0
		.amdhsa_shared_vgpr_count 0
		.amdhsa_exception_fp_ieee_invalid_op 0
		.amdhsa_exception_fp_denorm_src 0
		.amdhsa_exception_fp_ieee_div_zero 0
		.amdhsa_exception_fp_ieee_overflow 0
		.amdhsa_exception_fp_ieee_underflow 0
		.amdhsa_exception_fp_ieee_inexact 0
		.amdhsa_exception_int_div_zero 0
	.end_amdhsa_kernel
	.section	.text._ZN9rocsparseL23coomvn_aos_atomic_loopsILj256ELj1Eld21rocsparse_complex_numIdES2_S2_EEvlNS_24const_host_device_scalarIT5_EEPKT1_PKT2_PKT3_PT4_21rocsparse_index_base_b,"axG",@progbits,_ZN9rocsparseL23coomvn_aos_atomic_loopsILj256ELj1Eld21rocsparse_complex_numIdES2_S2_EEvlNS_24const_host_device_scalarIT5_EEPKT1_PKT2_PKT3_PT4_21rocsparse_index_base_b,comdat
.Lfunc_end67:
	.size	_ZN9rocsparseL23coomvn_aos_atomic_loopsILj256ELj1Eld21rocsparse_complex_numIdES2_S2_EEvlNS_24const_host_device_scalarIT5_EEPKT1_PKT2_PKT3_PT4_21rocsparse_index_base_b, .Lfunc_end67-_ZN9rocsparseL23coomvn_aos_atomic_loopsILj256ELj1Eld21rocsparse_complex_numIdES2_S2_EEvlNS_24const_host_device_scalarIT5_EEPKT1_PKT2_PKT3_PT4_21rocsparse_index_base_b
                                        ; -- End function
	.section	.AMDGPU.csdata,"",@progbits
; Kernel info:
; codeLenInByte = 2072
; NumSgprs: 18
; NumVgprs: 19
; ScratchSize: 0
; MemoryBound: 0
; FloatMode: 240
; IeeeMode: 1
; LDSByteSize: 8192 bytes/workgroup (compile time only)
; SGPRBlocks: 2
; VGPRBlocks: 2
; NumSGPRsForWavesPerEU: 18
; NumVGPRsForWavesPerEU: 19
; Occupancy: 16
; WaveLimiterHint : 1
; COMPUTE_PGM_RSRC2:SCRATCH_EN: 0
; COMPUTE_PGM_RSRC2:USER_SGPR: 15
; COMPUTE_PGM_RSRC2:TRAP_HANDLER: 0
; COMPUTE_PGM_RSRC2:TGID_X_EN: 1
; COMPUTE_PGM_RSRC2:TGID_Y_EN: 0
; COMPUTE_PGM_RSRC2:TGID_Z_EN: 0
; COMPUTE_PGM_RSRC2:TIDIG_COMP_CNT: 2
	.section	.text._ZN9rocsparseL17coomvt_aos_kernelILj1024Eld21rocsparse_complex_numIdES2_S2_EEv20rocsparse_operation_lNS_24const_host_device_scalarIT4_EEPKT0_PKT1_PKT2_PT3_21rocsparse_index_base_b,"axG",@progbits,_ZN9rocsparseL17coomvt_aos_kernelILj1024Eld21rocsparse_complex_numIdES2_S2_EEv20rocsparse_operation_lNS_24const_host_device_scalarIT4_EEPKT0_PKT1_PKT2_PT3_21rocsparse_index_base_b,comdat
	.globl	_ZN9rocsparseL17coomvt_aos_kernelILj1024Eld21rocsparse_complex_numIdES2_S2_EEv20rocsparse_operation_lNS_24const_host_device_scalarIT4_EEPKT0_PKT1_PKT2_PT3_21rocsparse_index_base_b ; -- Begin function _ZN9rocsparseL17coomvt_aos_kernelILj1024Eld21rocsparse_complex_numIdES2_S2_EEv20rocsparse_operation_lNS_24const_host_device_scalarIT4_EEPKT0_PKT1_PKT2_PT3_21rocsparse_index_base_b
	.p2align	8
	.type	_ZN9rocsparseL17coomvt_aos_kernelILj1024Eld21rocsparse_complex_numIdES2_S2_EEv20rocsparse_operation_lNS_24const_host_device_scalarIT4_EEPKT0_PKT1_PKT2_PT3_21rocsparse_index_base_b,@function
_ZN9rocsparseL17coomvt_aos_kernelILj1024Eld21rocsparse_complex_numIdES2_S2_EEv20rocsparse_operation_lNS_24const_host_device_scalarIT4_EEPKT0_PKT1_PKT2_PT3_21rocsparse_index_base_b: ; @_ZN9rocsparseL17coomvt_aos_kernelILj1024Eld21rocsparse_complex_numIdES2_S2_EEv20rocsparse_operation_lNS_24const_host_device_scalarIT4_EEPKT0_PKT1_PKT2_PT3_21rocsparse_index_base_b
; %bb.0:
	s_load_b64 s[0:1], s[0:1], 0x4
	s_clause 0x2
	s_load_b64 s[8:9], s[2:3], 0x40
	s_load_b128 s[4:7], s[2:3], 0x8
	s_load_b64 s[10:11], s[2:3], 0x18
	v_and_b32_e32 v1, 0x3ff, v0
	v_bfe_u32 v3, v0, 10, 10
	v_bfe_u32 v0, v0, 20, 10
	s_waitcnt lgkmcnt(0)
	s_lshr_b32 s0, s0, 16
	s_and_b32 s9, 1, s9
	v_mov_b32_e32 v4, s6
	s_mul_i32 s0, s0, s1
	s_cmp_eq_u32 s9, 1
	v_mul_lo_u32 v2, s0, v1
	s_cselect_b32 vcc_lo, -1, 0
	v_dual_mov_b32 v5, s7 :: v_dual_mov_b32 v8, s10
	v_mov_b32_e32 v9, s11
	s_delay_alu instid0(VALU_DEP_3) | instskip(SKIP_1) | instid1(VALU_DEP_1)
	v_mad_u32_u24 v2, v3, s1, v2
	s_mov_b64 s[0:1], src_shared_base
	v_add_lshl_u32 v0, v2, v0, 3
	s_delay_alu instid0(VALU_DEP_1)
	v_cndmask_b32_e32 v2, s6, v0, vcc_lo
	s_and_b32 vcc_lo, vcc_lo, exec_lo
	s_cselect_b32 s0, s1, s7
	ds_store_b64 v0, v[4:5]
	v_mov_b32_e32 v3, s0
	flat_load_b64 v[4:5], v[2:3]
	s_cbranch_vccnz .LBB68_2
; %bb.1:
	v_dual_mov_b32 v2, s6 :: v_dual_mov_b32 v3, s7
	flat_load_b64 v[8:9], v[2:3] offset:8
.LBB68_2:
	s_waitcnt vmcnt(0) lgkmcnt(0)
	v_cmp_neq_f64_e32 vcc_lo, 0, v[4:5]
	v_cmp_neq_f64_e64 s0, 0, v[8:9]
	s_delay_alu instid0(VALU_DEP_1) | instskip(NEXT) | instid1(SALU_CYCLE_1)
	s_or_b32 s0, vcc_lo, s0
	s_and_saveexec_b32 s1, s0
	s_cbranch_execz .LBB68_8
; %bb.3:
	s_load_b32 s0, s[2:3], 0x54
	s_waitcnt lgkmcnt(0)
	s_and_b32 s0, s0, 0xffff
	s_delay_alu instid0(SALU_CYCLE_1) | instskip(SKIP_1) | instid1(VALU_DEP_1)
	v_mad_u64_u32 v[2:3], null, s15, s0, v[1:2]
	v_mov_b32_e32 v3, 0
	v_cmp_gt_i64_e32 vcc_lo, s[4:5], v[2:3]
	s_and_b32 exec_lo, exec_lo, vcc_lo
	s_cbranch_execz .LBB68_8
; %bb.4:
	s_load_b256 s[0:7], s[2:3], 0x20
	v_lshlrev_b64 v[0:1], 4, v[2:3]
	v_mul_f64 v[16:17], 0x80000000, v[8:9]
	s_waitcnt lgkmcnt(0)
	s_delay_alu instid0(VALU_DEP_2) | instskip(NEXT) | instid1(VALU_DEP_3)
	v_add_co_u32 v0, vcc_lo, s0, v0
	v_add_co_ci_u32_e32 v1, vcc_lo, s1, v1, vcc_lo
	s_mov_b32 s0, 0
	global_load_b128 v[10:13], v[0:1], off
	v_lshlrev_b64 v[0:1], 3, v[2:3]
	s_delay_alu instid0(VALU_DEP_1) | instskip(NEXT) | instid1(VALU_DEP_2)
	v_add_co_u32 v0, vcc_lo, s2, v0
	v_add_co_ci_u32_e32 v1, vcc_lo, s3, v1, vcc_lo
	global_load_b64 v[14:15], v[0:1], off
	s_waitcnt vmcnt(1)
	v_sub_co_u32 v0, vcc_lo, v10, s8
	v_subrev_co_ci_u32_e32 v1, vcc_lo, 0, v11, vcc_lo
	s_delay_alu instid0(VALU_DEP_1) | instskip(NEXT) | instid1(VALU_DEP_1)
	v_lshlrev_b64 v[0:1], 4, v[0:1]
	v_add_co_u32 v0, vcc_lo, s4, v0
	s_delay_alu instid0(VALU_DEP_2)
	v_add_co_ci_u32_e32 v1, vcc_lo, s5, v1, vcc_lo
	v_sub_co_u32 v6, vcc_lo, v12, s8
	v_subrev_co_ci_u32_e32 v7, vcc_lo, 0, v13, vcc_lo
	global_load_b128 v[0:3], v[0:1], off
	v_mul_f64 v[12:13], v[4:5], 0
	v_lshlrev_b64 v[6:7], 4, v[6:7]
	s_delay_alu instid0(VALU_DEP_1) | instskip(NEXT) | instid1(VALU_DEP_2)
	v_add_co_u32 v10, vcc_lo, s6, v6
	v_add_co_ci_u32_e32 v11, vcc_lo, s7, v7, vcc_lo
	global_load_b64 v[6:7], v[10:11], off
	s_waitcnt vmcnt(2)
	v_fma_f64 v[8:9], v[8:9], v[14:15], v[12:13]
	v_fma_f64 v[12:13], v[4:5], v[14:15], v[16:17]
	s_waitcnt vmcnt(1)
	s_delay_alu instid0(VALU_DEP_2) | instskip(NEXT) | instid1(VALU_DEP_1)
	v_mul_f64 v[4:5], v[2:3], -v[8:9]
	v_fma_f64 v[14:15], v[12:13], v[0:1], v[4:5]
.LBB68_5:                               ; =>This Inner Loop Header: Depth=1
	s_waitcnt vmcnt(0)
	s_delay_alu instid0(VALU_DEP_1)
	v_add_f64 v[4:5], v[6:7], v[14:15]
	global_atomic_cmpswap_b64 v[4:5], v[10:11], v[4:7], off glc
	s_waitcnt vmcnt(0)
	v_cmp_eq_u64_e32 vcc_lo, v[4:5], v[6:7]
	v_dual_mov_b32 v7, v5 :: v_dual_mov_b32 v6, v4
	s_or_b32 s0, vcc_lo, s0
	s_delay_alu instid0(SALU_CYCLE_1)
	s_and_not1_b32 exec_lo, exec_lo, s0
	s_cbranch_execnz .LBB68_5
; %bb.6:
	s_or_b32 exec_lo, exec_lo, s0
	global_load_b64 v[4:5], v[10:11], off offset:8
	v_mul_f64 v[2:3], v[12:13], v[2:3]
	s_mov_b32 s0, 0
	s_delay_alu instid0(VALU_DEP_1)
	v_fma_f64 v[0:1], v[8:9], v[0:1], v[2:3]
.LBB68_7:                               ; =>This Inner Loop Header: Depth=1
	s_waitcnt vmcnt(0)
	s_delay_alu instid0(VALU_DEP_1)
	v_add_f64 v[2:3], v[4:5], v[0:1]
	global_atomic_cmpswap_b64 v[2:3], v[10:11], v[2:5], off offset:8 glc
	s_waitcnt vmcnt(0)
	v_cmp_eq_u64_e32 vcc_lo, v[2:3], v[4:5]
	v_dual_mov_b32 v5, v3 :: v_dual_mov_b32 v4, v2
	s_or_b32 s0, vcc_lo, s0
	s_delay_alu instid0(SALU_CYCLE_1)
	s_and_not1_b32 exec_lo, exec_lo, s0
	s_cbranch_execnz .LBB68_7
.LBB68_8:
	s_endpgm
	.section	.rodata,"a",@progbits
	.p2align	6, 0x0
	.amdhsa_kernel _ZN9rocsparseL17coomvt_aos_kernelILj1024Eld21rocsparse_complex_numIdES2_S2_EEv20rocsparse_operation_lNS_24const_host_device_scalarIT4_EEPKT0_PKT1_PKT2_PT3_21rocsparse_index_base_b
		.amdhsa_group_segment_fixed_size 8192
		.amdhsa_private_segment_fixed_size 0
		.amdhsa_kernarg_size 328
		.amdhsa_user_sgpr_count 15
		.amdhsa_user_sgpr_dispatch_ptr 1
		.amdhsa_user_sgpr_queue_ptr 0
		.amdhsa_user_sgpr_kernarg_segment_ptr 1
		.amdhsa_user_sgpr_dispatch_id 0
		.amdhsa_user_sgpr_private_segment_size 0
		.amdhsa_wavefront_size32 1
		.amdhsa_uses_dynamic_stack 0
		.amdhsa_enable_private_segment 0
		.amdhsa_system_sgpr_workgroup_id_x 1
		.amdhsa_system_sgpr_workgroup_id_y 0
		.amdhsa_system_sgpr_workgroup_id_z 0
		.amdhsa_system_sgpr_workgroup_info 0
		.amdhsa_system_vgpr_workitem_id 2
		.amdhsa_next_free_vgpr 18
		.amdhsa_next_free_sgpr 16
		.amdhsa_reserve_vcc 1
		.amdhsa_float_round_mode_32 0
		.amdhsa_float_round_mode_16_64 0
		.amdhsa_float_denorm_mode_32 3
		.amdhsa_float_denorm_mode_16_64 3
		.amdhsa_dx10_clamp 1
		.amdhsa_ieee_mode 1
		.amdhsa_fp16_overflow 0
		.amdhsa_workgroup_processor_mode 1
		.amdhsa_memory_ordered 1
		.amdhsa_forward_progress 0
		.amdhsa_shared_vgpr_count 0
		.amdhsa_exception_fp_ieee_invalid_op 0
		.amdhsa_exception_fp_denorm_src 0
		.amdhsa_exception_fp_ieee_div_zero 0
		.amdhsa_exception_fp_ieee_overflow 0
		.amdhsa_exception_fp_ieee_underflow 0
		.amdhsa_exception_fp_ieee_inexact 0
		.amdhsa_exception_int_div_zero 0
	.end_amdhsa_kernel
	.section	.text._ZN9rocsparseL17coomvt_aos_kernelILj1024Eld21rocsparse_complex_numIdES2_S2_EEv20rocsparse_operation_lNS_24const_host_device_scalarIT4_EEPKT0_PKT1_PKT2_PT3_21rocsparse_index_base_b,"axG",@progbits,_ZN9rocsparseL17coomvt_aos_kernelILj1024Eld21rocsparse_complex_numIdES2_S2_EEv20rocsparse_operation_lNS_24const_host_device_scalarIT4_EEPKT0_PKT1_PKT2_PT3_21rocsparse_index_base_b,comdat
.Lfunc_end68:
	.size	_ZN9rocsparseL17coomvt_aos_kernelILj1024Eld21rocsparse_complex_numIdES2_S2_EEv20rocsparse_operation_lNS_24const_host_device_scalarIT4_EEPKT0_PKT1_PKT2_PT3_21rocsparse_index_base_b, .Lfunc_end68-_ZN9rocsparseL17coomvt_aos_kernelILj1024Eld21rocsparse_complex_numIdES2_S2_EEv20rocsparse_operation_lNS_24const_host_device_scalarIT4_EEPKT0_PKT1_PKT2_PT3_21rocsparse_index_base_b
                                        ; -- End function
	.section	.AMDGPU.csdata,"",@progbits
; Kernel info:
; codeLenInByte = 660
; NumSgprs: 18
; NumVgprs: 18
; ScratchSize: 0
; MemoryBound: 0
; FloatMode: 240
; IeeeMode: 1
; LDSByteSize: 8192 bytes/workgroup (compile time only)
; SGPRBlocks: 2
; VGPRBlocks: 2
; NumSGPRsForWavesPerEU: 18
; NumVGPRsForWavesPerEU: 18
; Occupancy: 16
; WaveLimiterHint : 1
; COMPUTE_PGM_RSRC2:SCRATCH_EN: 0
; COMPUTE_PGM_RSRC2:USER_SGPR: 15
; COMPUTE_PGM_RSRC2:TRAP_HANDLER: 0
; COMPUTE_PGM_RSRC2:TGID_X_EN: 1
; COMPUTE_PGM_RSRC2:TGID_Y_EN: 0
; COMPUTE_PGM_RSRC2:TGID_Z_EN: 0
; COMPUTE_PGM_RSRC2:TIDIG_COMP_CNT: 2
	.section	.text._ZN9rocsparseL26coomvn_aos_segmented_loopsILj256Eld21rocsparse_complex_numIdES2_S2_EEvlT0_NS_24const_host_device_scalarIT4_EEPKS3_PKT1_PKT2_PT3_PS3_PS5_21rocsparse_index_base_b,"axG",@progbits,_ZN9rocsparseL26coomvn_aos_segmented_loopsILj256Eld21rocsparse_complex_numIdES2_S2_EEvlT0_NS_24const_host_device_scalarIT4_EEPKS3_PKT1_PKT2_PT3_PS3_PS5_21rocsparse_index_base_b,comdat
	.globl	_ZN9rocsparseL26coomvn_aos_segmented_loopsILj256Eld21rocsparse_complex_numIdES2_S2_EEvlT0_NS_24const_host_device_scalarIT4_EEPKS3_PKT1_PKT2_PT3_PS3_PS5_21rocsparse_index_base_b ; -- Begin function _ZN9rocsparseL26coomvn_aos_segmented_loopsILj256Eld21rocsparse_complex_numIdES2_S2_EEvlT0_NS_24const_host_device_scalarIT4_EEPKS3_PKT1_PKT2_PT3_PS3_PS5_21rocsparse_index_base_b
	.p2align	8
	.type	_ZN9rocsparseL26coomvn_aos_segmented_loopsILj256Eld21rocsparse_complex_numIdES2_S2_EEvlT0_NS_24const_host_device_scalarIT4_EEPKS3_PKT1_PKT2_PT3_PS3_PS5_21rocsparse_index_base_b,@function
_ZN9rocsparseL26coomvn_aos_segmented_loopsILj256Eld21rocsparse_complex_numIdES2_S2_EEvlT0_NS_24const_host_device_scalarIT4_EEPKS3_PKT1_PKT2_PT3_PS3_PS5_21rocsparse_index_base_b: ; @_ZN9rocsparseL26coomvn_aos_segmented_loopsILj256Eld21rocsparse_complex_numIdES2_S2_EEvlT0_NS_24const_host_device_scalarIT4_EEPKS3_PKT1_PKT2_PT3_PS3_PS5_21rocsparse_index_base_b
; %bb.0:
	s_load_b64 s[0:1], s[0:1], 0x4
	s_load_b256 s[16:23], s[2:3], 0x0
	v_and_b32_e32 v18, 0x3ff, v0
	s_load_b64 s[26:27], s[2:3], 0x50
	v_bfe_u32 v2, v0, 10, 10
	v_bfe_u32 v0, v0, 20, 10
	s_mov_b32 s24, s15
	s_waitcnt lgkmcnt(0)
	s_lshr_b32 s0, s0, 16
	v_mov_b32_e32 v6, s22
	s_mul_i32 s0, s0, s1
	v_mov_b32_e32 v7, s23
	v_mul_lo_u32 v1, s0, v18
	s_and_b32 s0, 1, s27
	s_delay_alu instid0(SALU_CYCLE_1) | instskip(SKIP_1) | instid1(VALU_DEP_1)
	s_cmp_eq_u32 s0, 1
	s_cselect_b32 vcc_lo, -1, 0
	v_mad_u32_u24 v1, v2, s1, v1
	s_mov_b64 s[0:1], src_shared_base
	v_dual_mov_b32 v2, s20 :: v_dual_mov_b32 v3, s21
	s_delay_alu instid0(VALU_DEP_2) | instskip(NEXT) | instid1(VALU_DEP_1)
	v_add_lshl_u32 v4, v1, v0, 3
	v_add_nc_u32_e32 v0, 0x1800, v4
	ds_store_b64 v4, v[2:3] offset:6144
	v_cndmask_b32_e32 v0, s20, v0, vcc_lo
	s_and_b32 vcc_lo, exec_lo, vcc_lo
	s_cselect_b32 s0, s1, s21
	s_delay_alu instid0(SALU_CYCLE_1)
	v_mov_b32_e32 v1, s0
	flat_load_b64 v[4:5], v[0:1]
	s_cbranch_vccnz .LBB69_2
; %bb.1:
	v_dual_mov_b32 v0, s20 :: v_dual_mov_b32 v1, s21
	flat_load_b64 v[6:7], v[0:1] offset:8
.LBB69_2:
	s_waitcnt vmcnt(0) lgkmcnt(0)
	v_cmp_neq_f64_e32 vcc_lo, 0, v[4:5]
	v_cmp_neq_f64_e64 s0, 0, v[6:7]
	s_delay_alu instid0(VALU_DEP_1) | instskip(NEXT) | instid1(SALU_CYCLE_1)
	s_or_b32 s0, vcc_lo, s0
	s_and_saveexec_b32 s1, s0
	s_cbranch_execz .LBB69_89
; %bb.3:
	s_clause 0x1
	s_load_b128 s[20:23], s[2:3], 0x20
	s_load_b64 s[34:35], s[2:3], 0x30
	s_mul_i32 s0, s24, s19
	s_mul_hi_u32 s1, s24, s18
	s_mov_b32 s25, 0
	s_add_i32 s1, s1, s0
	s_mul_i32 s0, s24, s18
	v_mov_b32_e32 v0, 0
	s_lshl_b64 s[0:1], s[0:1], 8
	v_dual_mov_b32 v1, 0 :: v_dual_mov_b32 v8, -1
	v_mov_b32_e32 v11, s1
	v_or_b32_e32 v10, s0, v18
	v_mov_b32_e32 v9, -1
	s_delay_alu instid0(VALU_DEP_4) | instskip(SKIP_1) | instid1(VALU_DEP_3)
	v_dual_mov_b32 v3, v1 :: v_dual_mov_b32 v2, v0
	s_mov_b32 s0, exec_lo
	v_cmpx_gt_i64_e64 s[16:17], v[10:11]
	s_cbranch_execz .LBB69_5
; %bb.4:
	v_lshlrev_b64 v[0:1], 4, v[10:11]
	s_ashr_i32 s27, s26, 31
	v_lshlrev_b64 v[2:3], 3, v[10:11]
	s_lshl_b64 s[4:5], s[26:27], 4
	s_waitcnt lgkmcnt(0)
	s_delay_alu instid0(VALU_DEP_2) | instskip(SKIP_4) | instid1(VALU_DEP_1)
	v_add_co_u32 v0, vcc_lo, s20, v0
	v_add_co_ci_u32_e32 v1, vcc_lo, s21, v1, vcc_lo
	global_load_b128 v[12:15], v[0:1], off slc dlc
	s_waitcnt vmcnt(0)
	v_lshlrev_b64 v[0:1], 4, v[14:15]
	v_add_co_u32 v0, vcc_lo, s34, v0
	s_delay_alu instid0(VALU_DEP_2) | instskip(NEXT) | instid1(VALU_DEP_2)
	v_add_co_ci_u32_e32 v1, vcc_lo, s35, v1, vcc_lo
	v_sub_co_u32 v0, vcc_lo, v0, s4
	s_delay_alu instid0(VALU_DEP_2)
	v_subrev_co_ci_u32_e32 v1, vcc_lo, s5, v1, vcc_lo
	v_add_co_u32 v2, vcc_lo, s22, v2
	v_add_co_ci_u32_e32 v3, vcc_lo, s23, v3, vcc_lo
	global_load_b128 v[14:17], v[0:1], off
	global_load_b64 v[0:1], v[2:3], off slc dlc
	s_waitcnt vmcnt(1)
	v_mul_f64 v[2:3], 0x80000000, v[16:17]
	s_waitcnt vmcnt(0)
	v_mul_f64 v[8:9], v[0:1], v[16:17]
	s_delay_alu instid0(VALU_DEP_2) | instskip(NEXT) | instid1(VALU_DEP_2)
	v_fma_f64 v[0:1], v[0:1], v[14:15], v[2:3]
	v_fma_f64 v[2:3], v[14:15], 0, v[8:9]
	v_sub_co_u32 v8, vcc_lo, v12, s26
	v_subrev_co_ci_u32_e32 v9, vcc_lo, 0, v13, vcc_lo
.LBB69_5:
	s_or_b32 exec_lo, exec_lo, s0
	v_lshlrev_b32_e32 v12, 3, v18
	v_lshlrev_b32_e32 v20, 4, v18
	v_cmp_eq_u32_e64 s0, 0, v18
	v_cmp_ne_u32_e64 s1, 0, v18
	ds_store_b64 v12, v[8:9] offset:4096
	ds_store_b128 v20, v[0:3]
	v_or_b32_e32 v19, 0x1000, v12
	s_waitcnt lgkmcnt(0)
	s_barrier
	buffer_gl0_inv
	v_add_nc_u32_e32 v21, -8, v19
	s_and_saveexec_b32 s4, s1
	s_cbranch_execz .LBB69_9
; %bb.6:
	ds_load_b64 v[13:14], v21
	s_mov_b32 s5, exec_lo
	s_waitcnt lgkmcnt(0)
	v_cmpx_eq_u64_e64 v[8:9], v[13:14]
	s_cbranch_execz .LBB69_8
; %bb.7:
	v_add_nc_u32_e32 v13, -16, v20
	ds_load_b128 v[13:16], v13
	s_waitcnt lgkmcnt(0)
	v_add_f64 v[0:1], v[0:1], v[13:14]
	v_add_f64 v[2:3], v[2:3], v[15:16]
.LBB69_8:
	s_or_b32 exec_lo, exec_lo, s5
.LBB69_9:
	s_delay_alu instid0(SALU_CYCLE_1)
	s_or_b32 exec_lo, exec_lo, s4
	v_cmp_lt_u32_e64 s4, 1, v18
	v_add_nc_u32_e32 v22, -16, v19
	s_barrier
	buffer_gl0_inv
	ds_store_b128 v20, v[0:3]
	s_waitcnt lgkmcnt(0)
	s_barrier
	buffer_gl0_inv
	s_and_saveexec_b32 s5, s4
	s_cbranch_execz .LBB69_13
; %bb.10:
	ds_load_b64 v[13:14], v22
	s_mov_b32 s6, exec_lo
	s_waitcnt lgkmcnt(0)
	v_cmpx_eq_u64_e64 v[8:9], v[13:14]
	s_cbranch_execz .LBB69_12
; %bb.11:
	v_subrev_nc_u32_e32 v13, 32, v20
	ds_load_b128 v[13:16], v13
	s_waitcnt lgkmcnt(0)
	v_add_f64 v[0:1], v[0:1], v[13:14]
	v_add_f64 v[2:3], v[2:3], v[15:16]
.LBB69_12:
	s_or_b32 exec_lo, exec_lo, s6
.LBB69_13:
	s_delay_alu instid0(SALU_CYCLE_1)
	s_or_b32 exec_lo, exec_lo, s5
	v_cmp_lt_u32_e64 s5, 3, v18
	v_subrev_nc_u32_e32 v23, 32, v19
	s_barrier
	buffer_gl0_inv
	ds_store_b128 v20, v[0:3]
	s_waitcnt lgkmcnt(0)
	s_barrier
	buffer_gl0_inv
	s_and_saveexec_b32 s6, s5
	s_cbranch_execz .LBB69_17
; %bb.14:
	ds_load_b64 v[13:14], v23
	s_mov_b32 s7, exec_lo
	s_waitcnt lgkmcnt(0)
	v_cmpx_eq_u64_e64 v[8:9], v[13:14]
	s_cbranch_execz .LBB69_16
; %bb.15:
	v_subrev_nc_u32_e32 v13, 64, v20
	ds_load_b128 v[13:16], v13
	s_waitcnt lgkmcnt(0)
	v_add_f64 v[0:1], v[0:1], v[13:14]
	v_add_f64 v[2:3], v[2:3], v[15:16]
.LBB69_16:
	s_or_b32 exec_lo, exec_lo, s7
.LBB69_17:
	s_delay_alu instid0(SALU_CYCLE_1)
	s_or_b32 exec_lo, exec_lo, s6
	v_cmp_lt_u32_e64 s6, 7, v18
	v_subrev_nc_u32_e32 v24, 64, v19
	s_barrier
	buffer_gl0_inv
	ds_store_b128 v20, v[0:3]
	s_waitcnt lgkmcnt(0)
	s_barrier
	buffer_gl0_inv
	s_and_saveexec_b32 s7, s6
	s_cbranch_execz .LBB69_21
; %bb.18:
	ds_load_b64 v[13:14], v24
	s_mov_b32 s8, exec_lo
	s_waitcnt lgkmcnt(0)
	v_cmpx_eq_u64_e64 v[8:9], v[13:14]
	s_cbranch_execz .LBB69_20
; %bb.19:
	v_add_nc_u32_e32 v13, 0xffffff80, v20
	ds_load_b128 v[13:16], v13
	s_waitcnt lgkmcnt(0)
	v_add_f64 v[0:1], v[0:1], v[13:14]
	v_add_f64 v[2:3], v[2:3], v[15:16]
.LBB69_20:
	s_or_b32 exec_lo, exec_lo, s8
.LBB69_21:
	s_delay_alu instid0(SALU_CYCLE_1)
	s_or_b32 exec_lo, exec_lo, s7
	v_cmp_lt_u32_e64 s7, 15, v18
	v_add_nc_u32_e32 v25, 0xffffff80, v19
	s_barrier
	buffer_gl0_inv
	ds_store_b128 v20, v[0:3]
	s_waitcnt lgkmcnt(0)
	s_barrier
	buffer_gl0_inv
	s_and_saveexec_b32 s8, s7
	s_cbranch_execz .LBB69_25
; %bb.22:
	ds_load_b64 v[13:14], v25
	s_mov_b32 s9, exec_lo
	s_waitcnt lgkmcnt(0)
	v_cmpx_eq_u64_e64 v[8:9], v[13:14]
	s_cbranch_execz .LBB69_24
; %bb.23:
	v_add_nc_u32_e32 v13, 0xffffff00, v20
	ds_load_b128 v[13:16], v13
	s_waitcnt lgkmcnt(0)
	v_add_f64 v[0:1], v[0:1], v[13:14]
	v_add_f64 v[2:3], v[2:3], v[15:16]
.LBB69_24:
	s_or_b32 exec_lo, exec_lo, s9
.LBB69_25:
	s_delay_alu instid0(SALU_CYCLE_1)
	s_or_b32 exec_lo, exec_lo, s8
	v_cmp_lt_u32_e64 s8, 31, v18
	v_add_nc_u32_e32 v26, 0xffffff00, v19
	;; [unrolled: 27-line block ×3, first 2 shown]
	s_barrier
	buffer_gl0_inv
	ds_store_b128 v20, v[0:3]
	s_waitcnt lgkmcnt(0)
	s_barrier
	buffer_gl0_inv
	s_and_saveexec_b32 s10, s9
	s_cbranch_execz .LBB69_33
; %bb.30:
	ds_load_b64 v[13:14], v27
	s_mov_b32 s11, exec_lo
	s_waitcnt lgkmcnt(0)
	v_cmpx_eq_u64_e64 v[8:9], v[13:14]
	s_cbranch_execz .LBB69_32
; %bb.31:
	v_add_nc_u32_e32 v13, 0xfffffc00, v20
	ds_load_b128 v[13:16], v13
	s_waitcnt lgkmcnt(0)
	v_add_f64 v[0:1], v[0:1], v[13:14]
	v_add_f64 v[2:3], v[2:3], v[15:16]
.LBB69_32:
	s_or_b32 exec_lo, exec_lo, s11
.LBB69_33:
	s_delay_alu instid0(SALU_CYCLE_1)
	s_or_b32 exec_lo, exec_lo, s10
	s_load_b64 s[28:29], s[2:3], 0x38
	v_cmp_lt_u32_e64 s10, 0x7f, v18
	v_add_nc_u32_e32 v28, 0xfffffc00, v19
	s_waitcnt lgkmcnt(0)
	s_barrier
	buffer_gl0_inv
	ds_store_b128 v20, v[0:3]
	s_waitcnt lgkmcnt(0)
	s_barrier
	buffer_gl0_inv
	s_and_saveexec_b32 s11, s10
	s_cbranch_execz .LBB69_37
; %bb.34:
	ds_load_b64 v[13:14], v28
	s_mov_b32 s12, exec_lo
	s_waitcnt lgkmcnt(0)
	v_cmpx_eq_u64_e64 v[8:9], v[13:14]
	s_cbranch_execz .LBB69_36
; %bb.35:
	v_add_nc_u32_e32 v13, 0xfffff800, v20
	ds_load_b128 v[13:16], v13
	s_waitcnt lgkmcnt(0)
	v_add_f64 v[0:1], v[0:1], v[13:14]
	v_add_f64 v[2:3], v[2:3], v[15:16]
.LBB69_36:
	s_or_b32 exec_lo, exec_lo, s12
.LBB69_37:
	s_delay_alu instid0(SALU_CYCLE_1)
	s_or_b32 exec_lo, exec_lo, s11
	v_cmp_gt_u32_e64 s11, 0xff, v18
	s_barrier
	buffer_gl0_inv
	ds_store_b128 v20, v[0:3]
	s_waitcnt lgkmcnt(0)
	s_barrier
	buffer_gl0_inv
	s_and_saveexec_b32 s13, s11
	s_cbranch_execz .LBB69_40
; %bb.38:
	ds_load_b64 v[13:14], v19 offset:8
	v_cmp_lt_i64_e64 s12, -1, v[8:9]
	s_waitcnt lgkmcnt(0)
	v_cmp_ne_u64_e32 vcc_lo, v[8:9], v[13:14]
	s_delay_alu instid0(VALU_DEP_2) | instskip(NEXT) | instid1(SALU_CYCLE_1)
	s_and_b32 s12, s12, vcc_lo
	s_and_b32 exec_lo, exec_lo, s12
	s_cbranch_execz .LBB69_40
; %bb.39:
	v_lshlrev_b64 v[13:14], 4, v[8:9]
	s_delay_alu instid0(VALU_DEP_1) | instskip(NEXT) | instid1(VALU_DEP_2)
	v_add_co_u32 v29, vcc_lo, s28, v13
	v_add_co_ci_u32_e32 v30, vcc_lo, s29, v14, vcc_lo
	global_load_b128 v[13:16], v[29:30], off
	s_waitcnt vmcnt(0)
	v_fma_f64 v[13:14], v[4:5], v[0:1], v[13:14]
	v_fma_f64 v[15:16], v[6:7], v[0:1], v[15:16]
	s_delay_alu instid0(VALU_DEP_2) | instskip(NEXT) | instid1(VALU_DEP_2)
	v_fma_f64 v[13:14], -v[6:7], v[2:3], v[13:14]
	v_fma_f64 v[15:16], v[4:5], v[2:3], v[15:16]
	global_store_b128 v[29:30], v[13:16], off
.LBB69_40:
	s_or_b32 exec_lo, exec_lo, s13
	s_load_b128 s[12:15], s[2:3], 0x40
	v_cmp_lt_i64_e64 s2, s[18:19], 2
	s_delay_alu instid0(VALU_DEP_1)
	s_and_b32 vcc_lo, exec_lo, s2
	s_cbranch_vccnz .LBB69_87
; %bb.41:
	s_add_u32 s30, s18, -1
	s_addc_u32 s31, s19, -1
	s_ashr_i32 s27, s26, 31
	s_mul_i32 s2, s19, s24
	s_lshl_b64 s[36:37], s[26:27], 4
	s_mul_hi_u32 s19, s18, s24
	s_sub_u32 s3, s34, s36
	s_subb_u32 s27, s35, s37
	s_add_i32 s19, s19, s2
	s_mul_i32 s18, s18, s24
	v_add_nc_u32_e32 v29, -16, v20
	s_lshl_b64 s[34:35], s[18:19], 11
	v_subrev_nc_u32_e32 v30, 32, v20
	s_add_u32 s2, s22, s34
	s_addc_u32 s22, s23, s35
	s_lshl_b64 s[18:19], s[18:19], 12
	v_add_co_u32 v0, s2, s2, v12
	s_delay_alu instid0(VALU_DEP_1) | instskip(SKIP_3) | instid1(VALU_DEP_1)
	v_add_co_ci_u32_e64 v1, null, s22, 0, s2
	s_add_u32 s2, s20, s18
	s_addc_u32 s18, s21, s19
	v_add_co_u32 v2, s2, s2, v20
	v_add_co_ci_u32_e64 v3, null, s18, 0, s2
	v_add_co_u32 v12, vcc_lo, 0x800, v0
	v_add_co_ci_u32_e32 v13, vcc_lo, 0, v1, vcc_lo
	s_delay_alu instid0(VALU_DEP_4) | instskip(NEXT) | instid1(VALU_DEP_4)
	v_add_co_u32 v14, vcc_lo, 0x1008, v2
	v_add_co_ci_u32_e32 v15, vcc_lo, 0, v3, vcc_lo
	v_add_co_u32 v10, vcc_lo, 0x100, v10
	v_subrev_nc_u32_e32 v31, 64, v20
	v_dual_mov_b32 v37, 0 :: v_dual_add_nc_u32 v32, 0xffffff80, v20
	v_add_nc_u32_e32 v33, 0xffffff00, v20
	v_add_nc_u32_e32 v34, 0xfffffe00, v20
	;; [unrolled: 1-line block ×4, first 2 shown]
	v_add_co_ci_u32_e32 v11, vcc_lo, 0, v11, vcc_lo
	s_mov_b64 s[18:19], 0
	s_branch .LBB69_43
.LBB69_42:                              ;   in Loop: Header=BB69_43 Depth=1
	s_or_b32 exec_lo, exec_lo, s20
	v_add_co_u32 v12, vcc_lo, 0x800, v12
	s_add_u32 s18, s18, 1
	v_add_co_ci_u32_e32 v13, vcc_lo, 0, v13, vcc_lo
	s_addc_u32 s19, s19, 0
	v_add_co_u32 v14, vcc_lo, 0x1000, v14
	v_cmp_le_u64_e64 s2, s[30:31], s[18:19]
	v_add_co_ci_u32_e32 v15, vcc_lo, 0, v15, vcc_lo
	v_add_co_u32 v10, vcc_lo, 0x100, v10
	v_add_co_ci_u32_e32 v11, vcc_lo, 0, v11, vcc_lo
	s_delay_alu instid0(VALU_DEP_4)
	s_and_b32 vcc_lo, exec_lo, s2
	s_cbranch_vccnz .LBB69_87
.LBB69_43:                              ; =>This Inner Loop Header: Depth=1
	v_mov_b32_e32 v0, 0
	v_dual_mov_b32 v1, 0 :: v_dual_mov_b32 v8, -1
	v_mov_b32_e32 v9, -1
	s_mov_b32 s2, exec_lo
	s_delay_alu instid0(VALU_DEP_2)
	v_dual_mov_b32 v3, v1 :: v_dual_mov_b32 v2, v0
	v_cmpx_gt_i64_e64 s[16:17], v[10:11]
	s_cbranch_execz .LBB69_45
; %bb.44:                               ;   in Loop: Header=BB69_43 Depth=1
	global_load_b128 v[38:41], v[14:15], off offset:-8 slc dlc
	s_waitcnt vmcnt(0)
	v_lshlrev_b64 v[0:1], 4, v[40:41]
	s_delay_alu instid0(VALU_DEP_1) | instskip(NEXT) | instid1(VALU_DEP_2)
	v_add_co_u32 v0, vcc_lo, s3, v0
	v_add_co_ci_u32_e32 v1, vcc_lo, s27, v1, vcc_lo
	global_load_b128 v[40:43], v[0:1], off
	global_load_b64 v[0:1], v[12:13], off slc dlc
	s_waitcnt vmcnt(1)
	v_mul_f64 v[2:3], 0x80000000, v[42:43]
	s_waitcnt vmcnt(0)
	v_mul_f64 v[8:9], v[0:1], v[42:43]
	s_delay_alu instid0(VALU_DEP_2) | instskip(NEXT) | instid1(VALU_DEP_2)
	v_fma_f64 v[0:1], v[0:1], v[40:41], v[2:3]
	v_fma_f64 v[2:3], v[40:41], 0, v[8:9]
	v_sub_co_u32 v8, vcc_lo, v38, s26
	v_subrev_co_ci_u32_e32 v9, vcc_lo, 0, v39, vcc_lo
.LBB69_45:                              ;   in Loop: Header=BB69_43 Depth=1
	s_or_b32 exec_lo, exec_lo, s2
	s_and_saveexec_b32 s2, s0
	s_cbranch_execz .LBB69_52
; %bb.46:                               ;   in Loop: Header=BB69_43 Depth=1
	ds_load_b64 v[16:17], v37 offset:6136
	s_mov_b32 s20, exec_lo
	s_waitcnt lgkmcnt(0)
	v_cmpx_ne_u64_e64 v[8:9], v[16:17]
	s_xor_b32 s20, exec_lo, s20
	s_cbranch_execz .LBB69_49
; %bb.47:                               ;   in Loop: Header=BB69_43 Depth=1
	v_cmp_gt_i64_e32 vcc_lo, 0, v[16:17]
	s_cbranch_vccnz .LBB69_49
; %bb.48:                               ;   in Loop: Header=BB69_43 Depth=1
	v_lshlrev_b64 v[16:17], 4, v[16:17]
	ds_load_b128 v[42:45], v37 offset:4080
	v_add_co_u32 v16, vcc_lo, s28, v16
	v_add_co_ci_u32_e32 v17, vcc_lo, s29, v17, vcc_lo
	global_load_b128 v[38:41], v[16:17], off
	s_waitcnt vmcnt(0) lgkmcnt(0)
	v_fma_f64 v[38:39], v[4:5], v[42:43], v[38:39]
	v_fma_f64 v[40:41], v[6:7], v[42:43], v[40:41]
	s_delay_alu instid0(VALU_DEP_2) | instskip(NEXT) | instid1(VALU_DEP_2)
	v_fma_f64 v[38:39], -v[6:7], v[44:45], v[38:39]
	v_fma_f64 v[40:41], v[4:5], v[44:45], v[40:41]
	global_store_b128 v[16:17], v[38:41], off
.LBB69_49:                              ;   in Loop: Header=BB69_43 Depth=1
	s_and_not1_saveexec_b32 s20, s20
	s_cbranch_execz .LBB69_51
; %bb.50:                               ;   in Loop: Header=BB69_43 Depth=1
	ds_load_b128 v[38:41], v37 offset:4080
	s_waitcnt lgkmcnt(0)
	v_add_f64 v[0:1], v[0:1], v[38:39]
	v_add_f64 v[2:3], v[2:3], v[40:41]
.LBB69_51:                              ;   in Loop: Header=BB69_43 Depth=1
	s_or_b32 exec_lo, exec_lo, s20
.LBB69_52:                              ;   in Loop: Header=BB69_43 Depth=1
	s_delay_alu instid0(SALU_CYCLE_1)
	s_or_b32 exec_lo, exec_lo, s2
	s_waitcnt lgkmcnt(0)
	s_waitcnt_vscnt null, 0x0
	s_barrier
	buffer_gl0_inv
	ds_store_b64 v19, v[8:9]
	ds_store_b128 v20, v[0:3]
	s_waitcnt lgkmcnt(0)
	s_barrier
	buffer_gl0_inv
	s_and_saveexec_b32 s2, s1
	s_cbranch_execz .LBB69_56
; %bb.53:                               ;   in Loop: Header=BB69_43 Depth=1
	ds_load_b64 v[16:17], v21
	s_mov_b32 s20, exec_lo
	s_waitcnt lgkmcnt(0)
	v_cmpx_eq_u64_e64 v[8:9], v[16:17]
	s_cbranch_execz .LBB69_55
; %bb.54:                               ;   in Loop: Header=BB69_43 Depth=1
	ds_load_b128 v[38:41], v29
	s_waitcnt lgkmcnt(0)
	v_add_f64 v[0:1], v[0:1], v[38:39]
	v_add_f64 v[2:3], v[2:3], v[40:41]
.LBB69_55:                              ;   in Loop: Header=BB69_43 Depth=1
	s_or_b32 exec_lo, exec_lo, s20
.LBB69_56:                              ;   in Loop: Header=BB69_43 Depth=1
	s_delay_alu instid0(SALU_CYCLE_1)
	s_or_b32 exec_lo, exec_lo, s2
	s_barrier
	buffer_gl0_inv
	ds_store_b128 v20, v[0:3]
	s_waitcnt lgkmcnt(0)
	s_barrier
	buffer_gl0_inv
	s_and_saveexec_b32 s2, s4
	s_cbranch_execz .LBB69_60
; %bb.57:                               ;   in Loop: Header=BB69_43 Depth=1
	ds_load_b64 v[16:17], v22
	s_mov_b32 s20, exec_lo
	s_waitcnt lgkmcnt(0)
	v_cmpx_eq_u64_e64 v[8:9], v[16:17]
	s_cbranch_execz .LBB69_59
; %bb.58:                               ;   in Loop: Header=BB69_43 Depth=1
	ds_load_b128 v[38:41], v30
	s_waitcnt lgkmcnt(0)
	v_add_f64 v[0:1], v[0:1], v[38:39]
	v_add_f64 v[2:3], v[2:3], v[40:41]
.LBB69_59:                              ;   in Loop: Header=BB69_43 Depth=1
	s_or_b32 exec_lo, exec_lo, s20
.LBB69_60:                              ;   in Loop: Header=BB69_43 Depth=1
	s_delay_alu instid0(SALU_CYCLE_1)
	s_or_b32 exec_lo, exec_lo, s2
	s_barrier
	buffer_gl0_inv
	;; [unrolled: 24-line block ×8, first 2 shown]
	ds_store_b128 v20, v[0:3]
	s_waitcnt lgkmcnt(0)
	s_barrier
	buffer_gl0_inv
	s_and_saveexec_b32 s20, s11
	s_cbranch_execz .LBB69_42
; %bb.85:                               ;   in Loop: Header=BB69_43 Depth=1
	ds_load_b64 v[16:17], v19 offset:8
	v_cmp_lt_i64_e64 s2, -1, v[8:9]
	s_waitcnt lgkmcnt(0)
	v_cmp_ne_u64_e32 vcc_lo, v[8:9], v[16:17]
	s_delay_alu instid0(VALU_DEP_2) | instskip(NEXT) | instid1(SALU_CYCLE_1)
	s_and_b32 s2, s2, vcc_lo
	s_and_b32 exec_lo, exec_lo, s2
	s_cbranch_execz .LBB69_42
; %bb.86:                               ;   in Loop: Header=BB69_43 Depth=1
	v_lshlrev_b64 v[16:17], 4, v[8:9]
	s_delay_alu instid0(VALU_DEP_1) | instskip(NEXT) | instid1(VALU_DEP_2)
	v_add_co_u32 v16, vcc_lo, s28, v16
	v_add_co_ci_u32_e32 v17, vcc_lo, s29, v17, vcc_lo
	global_load_b128 v[38:41], v[16:17], off
	s_waitcnt vmcnt(0)
	v_fma_f64 v[38:39], v[4:5], v[0:1], v[38:39]
	v_fma_f64 v[40:41], v[6:7], v[0:1], v[40:41]
	s_delay_alu instid0(VALU_DEP_2) | instskip(NEXT) | instid1(VALU_DEP_2)
	v_fma_f64 v[38:39], -v[6:7], v[2:3], v[38:39]
	v_fma_f64 v[40:41], v[4:5], v[2:3], v[40:41]
	global_store_b128 v[16:17], v[38:41], off
	s_branch .LBB69_42
.LBB69_87:
	v_cmp_eq_u32_e32 vcc_lo, 0xff, v18
	s_and_b32 exec_lo, exec_lo, vcc_lo
	s_cbranch_execz .LBB69_89
; %bb.88:
	v_mul_f64 v[10:11], v[2:3], -v[6:7]
	v_mul_f64 v[12:13], v[4:5], v[2:3]
	s_lshl_b64 s[0:1], s[24:25], 3
	s_waitcnt lgkmcnt(0)
	s_add_u32 s0, s12, s0
	s_addc_u32 s1, s13, s1
	s_lshl_b64 s[2:3], s[24:25], 4
	s_delay_alu instid0(SALU_CYCLE_1) | instskip(SKIP_1) | instid1(VALU_DEP_2)
	s_add_u32 s2, s14, s2
	s_addc_u32 s3, s15, s3
	v_fma_f64 v[2:3], v[4:5], v[0:1], v[10:11]
	s_delay_alu instid0(VALU_DEP_2)
	v_fma_f64 v[4:5], v[6:7], v[0:1], v[12:13]
	v_mov_b32_e32 v0, 0
	s_clause 0x1
	global_store_b64 v0, v[8:9], s[0:1] glc slc dlc
	global_store_b128 v0, v[2:5], s[2:3] glc slc dlc
.LBB69_89:
	s_nop 0
	s_sendmsg sendmsg(MSG_DEALLOC_VGPRS)
	s_endpgm
	.section	.rodata,"a",@progbits
	.p2align	6, 0x0
	.amdhsa_kernel _ZN9rocsparseL26coomvn_aos_segmented_loopsILj256Eld21rocsparse_complex_numIdES2_S2_EEvlT0_NS_24const_host_device_scalarIT4_EEPKS3_PKT1_PKT2_PT3_PS3_PS5_21rocsparse_index_base_b
		.amdhsa_group_segment_fixed_size 8192
		.amdhsa_private_segment_fixed_size 0
		.amdhsa_kernarg_size 88
		.amdhsa_user_sgpr_count 15
		.amdhsa_user_sgpr_dispatch_ptr 1
		.amdhsa_user_sgpr_queue_ptr 0
		.amdhsa_user_sgpr_kernarg_segment_ptr 1
		.amdhsa_user_sgpr_dispatch_id 0
		.amdhsa_user_sgpr_private_segment_size 0
		.amdhsa_wavefront_size32 1
		.amdhsa_uses_dynamic_stack 0
		.amdhsa_enable_private_segment 0
		.amdhsa_system_sgpr_workgroup_id_x 1
		.amdhsa_system_sgpr_workgroup_id_y 0
		.amdhsa_system_sgpr_workgroup_id_z 0
		.amdhsa_system_sgpr_workgroup_info 0
		.amdhsa_system_vgpr_workitem_id 2
		.amdhsa_next_free_vgpr 46
		.amdhsa_next_free_sgpr 38
		.amdhsa_reserve_vcc 1
		.amdhsa_float_round_mode_32 0
		.amdhsa_float_round_mode_16_64 0
		.amdhsa_float_denorm_mode_32 3
		.amdhsa_float_denorm_mode_16_64 3
		.amdhsa_dx10_clamp 1
		.amdhsa_ieee_mode 1
		.amdhsa_fp16_overflow 0
		.amdhsa_workgroup_processor_mode 1
		.amdhsa_memory_ordered 1
		.amdhsa_forward_progress 0
		.amdhsa_shared_vgpr_count 0
		.amdhsa_exception_fp_ieee_invalid_op 0
		.amdhsa_exception_fp_denorm_src 0
		.amdhsa_exception_fp_ieee_div_zero 0
		.amdhsa_exception_fp_ieee_overflow 0
		.amdhsa_exception_fp_ieee_underflow 0
		.amdhsa_exception_fp_ieee_inexact 0
		.amdhsa_exception_int_div_zero 0
	.end_amdhsa_kernel
	.section	.text._ZN9rocsparseL26coomvn_aos_segmented_loopsILj256Eld21rocsparse_complex_numIdES2_S2_EEvlT0_NS_24const_host_device_scalarIT4_EEPKS3_PKT1_PKT2_PT3_PS3_PS5_21rocsparse_index_base_b,"axG",@progbits,_ZN9rocsparseL26coomvn_aos_segmented_loopsILj256Eld21rocsparse_complex_numIdES2_S2_EEvlT0_NS_24const_host_device_scalarIT4_EEPKS3_PKT1_PKT2_PT3_PS3_PS5_21rocsparse_index_base_b,comdat
.Lfunc_end69:
	.size	_ZN9rocsparseL26coomvn_aos_segmented_loopsILj256Eld21rocsparse_complex_numIdES2_S2_EEvlT0_NS_24const_host_device_scalarIT4_EEPKS3_PKT1_PKT2_PT3_PS3_PS5_21rocsparse_index_base_b, .Lfunc_end69-_ZN9rocsparseL26coomvn_aos_segmented_loopsILj256Eld21rocsparse_complex_numIdES2_S2_EEvlT0_NS_24const_host_device_scalarIT4_EEPKS3_PKT1_PKT2_PT3_PS3_PS5_21rocsparse_index_base_b
                                        ; -- End function
	.section	.AMDGPU.csdata,"",@progbits
; Kernel info:
; codeLenInByte = 3648
; NumSgprs: 40
; NumVgprs: 46
; ScratchSize: 0
; MemoryBound: 1
; FloatMode: 240
; IeeeMode: 1
; LDSByteSize: 8192 bytes/workgroup (compile time only)
; SGPRBlocks: 4
; VGPRBlocks: 5
; NumSGPRsForWavesPerEU: 40
; NumVGPRsForWavesPerEU: 46
; Occupancy: 16
; WaveLimiterHint : 1
; COMPUTE_PGM_RSRC2:SCRATCH_EN: 0
; COMPUTE_PGM_RSRC2:USER_SGPR: 15
; COMPUTE_PGM_RSRC2:TRAP_HANDLER: 0
; COMPUTE_PGM_RSRC2:TGID_X_EN: 1
; COMPUTE_PGM_RSRC2:TGID_Y_EN: 0
; COMPUTE_PGM_RSRC2:TGID_Z_EN: 0
; COMPUTE_PGM_RSRC2:TIDIG_COMP_CNT: 2
	.section	.text._ZN9rocsparseL23coomvn_aos_atomic_loopsILj256ELj1EifdddEEvlNS_24const_host_device_scalarIT5_EEPKT1_PKT2_PKT3_PT4_21rocsparse_index_base_b,"axG",@progbits,_ZN9rocsparseL23coomvn_aos_atomic_loopsILj256ELj1EifdddEEvlNS_24const_host_device_scalarIT5_EEPKT1_PKT2_PKT3_PT4_21rocsparse_index_base_b,comdat
	.globl	_ZN9rocsparseL23coomvn_aos_atomic_loopsILj256ELj1EifdddEEvlNS_24const_host_device_scalarIT5_EEPKT1_PKT2_PKT3_PT4_21rocsparse_index_base_b ; -- Begin function _ZN9rocsparseL23coomvn_aos_atomic_loopsILj256ELj1EifdddEEvlNS_24const_host_device_scalarIT5_EEPKT1_PKT2_PKT3_PT4_21rocsparse_index_base_b
	.p2align	8
	.type	_ZN9rocsparseL23coomvn_aos_atomic_loopsILj256ELj1EifdddEEvlNS_24const_host_device_scalarIT5_EEPKT1_PKT2_PKT3_PT4_21rocsparse_index_base_b,@function
_ZN9rocsparseL23coomvn_aos_atomic_loopsILj256ELj1EifdddEEvlNS_24const_host_device_scalarIT5_EEPKT1_PKT2_PKT3_PT4_21rocsparse_index_base_b: ; @_ZN9rocsparseL23coomvn_aos_atomic_loopsILj256ELj1EifdddEEvlNS_24const_host_device_scalarIT5_EEPKT1_PKT2_PKT3_PT4_21rocsparse_index_base_b
; %bb.0:
	s_clause 0x1
	s_load_b64 s[2:3], s[0:1], 0x30
	s_load_b128 s[4:7], s[0:1], 0x0
	s_waitcnt lgkmcnt(0)
	s_bitcmp1_b32 s3, 0
	v_dual_mov_b32 v5, s6 :: v_dual_mov_b32 v6, s7
	s_cselect_b32 s3, -1, 0
	s_delay_alu instid0(SALU_CYCLE_1)
	s_and_b32 vcc_lo, exec_lo, s3
	s_cbranch_vccnz .LBB70_2
; %bb.1:
	v_dual_mov_b32 v1, s6 :: v_dual_mov_b32 v2, s7
	flat_load_b64 v[5:6], v[1:2]
.LBB70_2:
	s_mov_b32 s3, exec_lo
	s_waitcnt vmcnt(0) lgkmcnt(0)
	v_cmpx_neq_f64_e32 0, v[5:6]
	s_cbranch_execz .LBB70_44
; %bb.3:
	v_dual_mov_b32 v2, 0 :: v_dual_mov_b32 v7, 0
	v_lshl_or_b32 v1, s15, 8, v0
	v_dual_mov_b32 v8, 0 :: v_dual_mov_b32 v9, -1
	s_mov_b32 s3, exec_lo
	s_delay_alu instid0(VALU_DEP_2)
	v_cmpx_gt_i64_e64 s[4:5], v[1:2]
	s_cbranch_execz .LBB70_5
; %bb.4:
	s_clause 0x1
	s_load_b128 s[4:7], s[0:1], 0x10
	s_load_b64 s[8:9], s[0:1], 0x20
	v_lshlrev_b64 v[3:4], 3, v[1:2]
	v_lshlrev_b64 v[1:2], 2, v[1:2]
	s_waitcnt lgkmcnt(0)
	s_delay_alu instid0(VALU_DEP_2) | instskip(NEXT) | instid1(VALU_DEP_3)
	v_add_co_u32 v3, vcc_lo, s4, v3
	v_add_co_ci_u32_e32 v4, vcc_lo, s5, v4, vcc_lo
	s_delay_alu instid0(VALU_DEP_3) | instskip(NEXT) | instid1(VALU_DEP_4)
	v_add_co_u32 v1, vcc_lo, s6, v1
	v_add_co_ci_u32_e32 v2, vcc_lo, s7, v2, vcc_lo
	global_load_b64 v[3:4], v[3:4], off slc dlc
	global_load_b32 v7, v[1:2], off slc dlc
	s_waitcnt vmcnt(1)
	v_subrev_nc_u32_e32 v1, s2, v4
	v_subrev_nc_u32_e32 v9, s2, v3
	s_waitcnt vmcnt(0)
	v_cvt_f64_f32_e32 v[7:8], v7
	s_delay_alu instid0(VALU_DEP_3) | instskip(NEXT) | instid1(VALU_DEP_1)
	v_ashrrev_i32_e32 v2, 31, v1
	v_lshlrev_b64 v[1:2], 3, v[1:2]
	s_delay_alu instid0(VALU_DEP_1) | instskip(NEXT) | instid1(VALU_DEP_2)
	v_add_co_u32 v1, vcc_lo, s8, v1
	v_add_co_ci_u32_e32 v2, vcc_lo, s9, v2, vcc_lo
	global_load_b64 v[1:2], v[1:2], off
	s_waitcnt vmcnt(0)
	v_mul_f64 v[7:8], v[1:2], v[7:8]
.LBB70_5:
	s_or_b32 exec_lo, exec_lo, s3
	v_lshlrev_b32_e32 v3, 2, v0
	v_lshlrev_b32_e32 v2, 3, v0
	s_mov_b32 s2, exec_lo
	ds_store_b32 v3, v9 offset:2048
	ds_store_b64 v2, v[7:8]
	v_or_b32_e32 v1, 0x800, v3
	s_waitcnt lgkmcnt(0)
	s_barrier
	buffer_gl0_inv
	v_cmpx_ne_u32_e32 0, v0
	s_cbranch_execz .LBB70_9
; %bb.6:
	v_add_nc_u32_e32 v3, -4, v1
	s_mov_b32 s3, exec_lo
	ds_load_b32 v3, v3
	s_waitcnt lgkmcnt(0)
	v_cmpx_eq_u32_e64 v9, v3
	s_cbranch_execz .LBB70_8
; %bb.7:
	v_add_nc_u32_e32 v3, -8, v2
	ds_load_b64 v[3:4], v3
	s_waitcnt lgkmcnt(0)
	v_add_f64 v[7:8], v[7:8], v[3:4]
.LBB70_8:
	s_or_b32 exec_lo, exec_lo, s3
.LBB70_9:
	s_delay_alu instid0(SALU_CYCLE_1) | instskip(NEXT) | instid1(SALU_CYCLE_1)
	s_or_b32 exec_lo, exec_lo, s2
	s_mov_b32 s2, exec_lo
	s_barrier
	buffer_gl0_inv
	ds_store_b64 v2, v[7:8]
	s_waitcnt lgkmcnt(0)
	s_barrier
	buffer_gl0_inv
	v_cmpx_lt_u32_e32 1, v0
	s_cbranch_execz .LBB70_13
; %bb.10:
	v_add_nc_u32_e32 v3, -8, v1
	s_mov_b32 s3, exec_lo
	ds_load_b32 v3, v3
	s_waitcnt lgkmcnt(0)
	v_cmpx_eq_u32_e64 v9, v3
	s_cbranch_execz .LBB70_12
; %bb.11:
	v_add_nc_u32_e32 v3, -16, v2
	ds_load_b64 v[3:4], v3
	s_waitcnt lgkmcnt(0)
	v_add_f64 v[7:8], v[7:8], v[3:4]
.LBB70_12:
	s_or_b32 exec_lo, exec_lo, s3
.LBB70_13:
	s_delay_alu instid0(SALU_CYCLE_1) | instskip(NEXT) | instid1(SALU_CYCLE_1)
	s_or_b32 exec_lo, exec_lo, s2
	s_mov_b32 s2, exec_lo
	s_barrier
	buffer_gl0_inv
	ds_store_b64 v2, v[7:8]
	s_waitcnt lgkmcnt(0)
	s_barrier
	buffer_gl0_inv
	v_cmpx_lt_u32_e32 3, v0
	s_cbranch_execz .LBB70_17
; %bb.14:
	v_add_nc_u32_e32 v3, -16, v1
	s_mov_b32 s3, exec_lo
	ds_load_b32 v3, v3
	s_waitcnt lgkmcnt(0)
	v_cmpx_eq_u32_e64 v9, v3
	s_cbranch_execz .LBB70_16
; %bb.15:
	v_subrev_nc_u32_e32 v3, 32, v2
	ds_load_b64 v[3:4], v3
	s_waitcnt lgkmcnt(0)
	v_add_f64 v[7:8], v[7:8], v[3:4]
.LBB70_16:
	s_or_b32 exec_lo, exec_lo, s3
.LBB70_17:
	s_delay_alu instid0(SALU_CYCLE_1) | instskip(NEXT) | instid1(SALU_CYCLE_1)
	s_or_b32 exec_lo, exec_lo, s2
	s_mov_b32 s2, exec_lo
	s_barrier
	buffer_gl0_inv
	ds_store_b64 v2, v[7:8]
	s_waitcnt lgkmcnt(0)
	s_barrier
	buffer_gl0_inv
	v_cmpx_lt_u32_e32 7, v0
	s_cbranch_execz .LBB70_21
; %bb.18:
	v_subrev_nc_u32_e32 v3, 32, v1
	s_mov_b32 s3, exec_lo
	ds_load_b32 v3, v3
	s_waitcnt lgkmcnt(0)
	v_cmpx_eq_u32_e64 v9, v3
	s_cbranch_execz .LBB70_20
; %bb.19:
	v_subrev_nc_u32_e32 v3, 64, v2
	ds_load_b64 v[3:4], v3
	s_waitcnt lgkmcnt(0)
	v_add_f64 v[7:8], v[7:8], v[3:4]
.LBB70_20:
	s_or_b32 exec_lo, exec_lo, s3
.LBB70_21:
	s_delay_alu instid0(SALU_CYCLE_1) | instskip(NEXT) | instid1(SALU_CYCLE_1)
	s_or_b32 exec_lo, exec_lo, s2
	s_mov_b32 s2, exec_lo
	s_barrier
	buffer_gl0_inv
	ds_store_b64 v2, v[7:8]
	s_waitcnt lgkmcnt(0)
	s_barrier
	buffer_gl0_inv
	v_cmpx_lt_u32_e32 15, v0
	s_cbranch_execz .LBB70_25
; %bb.22:
	v_subrev_nc_u32_e32 v3, 64, v1
	s_mov_b32 s3, exec_lo
	ds_load_b32 v3, v3
	s_waitcnt lgkmcnt(0)
	v_cmpx_eq_u32_e64 v9, v3
	s_cbranch_execz .LBB70_24
; %bb.23:
	v_add_nc_u32_e32 v3, 0xffffff80, v2
	ds_load_b64 v[3:4], v3
	s_waitcnt lgkmcnt(0)
	v_add_f64 v[7:8], v[7:8], v[3:4]
.LBB70_24:
	s_or_b32 exec_lo, exec_lo, s3
.LBB70_25:
	s_delay_alu instid0(SALU_CYCLE_1) | instskip(NEXT) | instid1(SALU_CYCLE_1)
	s_or_b32 exec_lo, exec_lo, s2
	s_mov_b32 s2, exec_lo
	s_barrier
	buffer_gl0_inv
	ds_store_b64 v2, v[7:8]
	s_waitcnt lgkmcnt(0)
	s_barrier
	buffer_gl0_inv
	v_cmpx_lt_u32_e32 31, v0
	s_cbranch_execz .LBB70_29
; %bb.26:
	v_add_nc_u32_e32 v3, 0xffffff80, v1
	s_mov_b32 s3, exec_lo
	ds_load_b32 v3, v3
	s_waitcnt lgkmcnt(0)
	v_cmpx_eq_u32_e64 v9, v3
	s_cbranch_execz .LBB70_28
; %bb.27:
	v_add_nc_u32_e32 v3, 0xffffff00, v2
	ds_load_b64 v[3:4], v3
	s_waitcnt lgkmcnt(0)
	v_add_f64 v[7:8], v[7:8], v[3:4]
.LBB70_28:
	s_or_b32 exec_lo, exec_lo, s3
.LBB70_29:
	s_delay_alu instid0(SALU_CYCLE_1) | instskip(NEXT) | instid1(SALU_CYCLE_1)
	s_or_b32 exec_lo, exec_lo, s2
	s_mov_b32 s2, exec_lo
	s_barrier
	buffer_gl0_inv
	ds_store_b64 v2, v[7:8]
	s_waitcnt lgkmcnt(0)
	s_barrier
	buffer_gl0_inv
	v_cmpx_lt_u32_e32 63, v0
	s_cbranch_execz .LBB70_33
; %bb.30:
	v_add_nc_u32_e32 v3, 0xffffff00, v1
	s_mov_b32 s3, exec_lo
	ds_load_b32 v3, v3
	s_waitcnt lgkmcnt(0)
	v_cmpx_eq_u32_e64 v9, v3
	s_cbranch_execz .LBB70_32
; %bb.31:
	v_add_nc_u32_e32 v3, 0xfffffe00, v2
	ds_load_b64 v[3:4], v3
	s_waitcnt lgkmcnt(0)
	v_add_f64 v[7:8], v[7:8], v[3:4]
.LBB70_32:
	s_or_b32 exec_lo, exec_lo, s3
.LBB70_33:
	s_delay_alu instid0(SALU_CYCLE_1)
	s_or_b32 exec_lo, exec_lo, s2
	s_load_b64 s[2:3], s[0:1], 0x28
	s_mov_b32 s0, exec_lo
	s_waitcnt lgkmcnt(0)
	s_barrier
	buffer_gl0_inv
	ds_store_b64 v2, v[7:8]
	s_waitcnt lgkmcnt(0)
	s_barrier
	buffer_gl0_inv
	v_cmpx_lt_u32_e32 0x7f, v0
	s_cbranch_execz .LBB70_37
; %bb.34:
	v_add_nc_u32_e32 v3, 0xfffffe00, v1
	s_mov_b32 s1, exec_lo
	ds_load_b32 v3, v3
	s_waitcnt lgkmcnt(0)
	v_cmpx_eq_u32_e64 v9, v3
	s_cbranch_execz .LBB70_36
; %bb.35:
	v_add_nc_u32_e32 v3, 0xfffffc00, v2
	ds_load_b64 v[3:4], v3
	s_waitcnt lgkmcnt(0)
	v_add_f64 v[7:8], v[7:8], v[3:4]
.LBB70_36:
	s_or_b32 exec_lo, exec_lo, s1
.LBB70_37:
	s_delay_alu instid0(SALU_CYCLE_1) | instskip(NEXT) | instid1(SALU_CYCLE_1)
	s_or_b32 exec_lo, exec_lo, s0
	s_mov_b32 s1, exec_lo
	s_barrier
	buffer_gl0_inv
	ds_store_b64 v2, v[7:8]
	s_waitcnt lgkmcnt(0)
	s_barrier
	buffer_gl0_inv
	v_cmpx_gt_u32_e32 0xff, v0
	s_cbranch_execz .LBB70_41
; %bb.38:
	ds_load_b32 v1, v1 offset:4
	v_cmp_lt_i32_e64 s0, -1, v9
	s_waitcnt lgkmcnt(0)
	v_cmp_ne_u32_e32 vcc_lo, v9, v1
	s_delay_alu instid0(VALU_DEP_2) | instskip(NEXT) | instid1(SALU_CYCLE_1)
	s_and_b32 s0, s0, vcc_lo
	s_and_b32 exec_lo, exec_lo, s0
	s_cbranch_execz .LBB70_41
; %bb.39:
	v_mov_b32_e32 v10, 0
	v_mul_f64 v[12:13], v[5:6], v[7:8]
	s_mov_b32 s0, 0
	s_delay_alu instid0(VALU_DEP_2) | instskip(NEXT) | instid1(VALU_DEP_1)
	v_lshlrev_b64 v[1:2], 3, v[9:10]
	v_add_co_u32 v10, vcc_lo, s2, v1
	s_delay_alu instid0(VALU_DEP_2)
	v_add_co_ci_u32_e32 v11, vcc_lo, s3, v2, vcc_lo
	global_load_b64 v[3:4], v[10:11], off
.LBB70_40:                              ; =>This Inner Loop Header: Depth=1
	s_waitcnt vmcnt(0)
	v_add_f64 v[1:2], v[3:4], v[12:13]
	global_atomic_cmpswap_b64 v[1:2], v[10:11], v[1:4], off glc
	s_waitcnt vmcnt(0)
	v_cmp_eq_u64_e32 vcc_lo, v[1:2], v[3:4]
	v_dual_mov_b32 v4, v2 :: v_dual_mov_b32 v3, v1
	s_or_b32 s0, vcc_lo, s0
	s_delay_alu instid0(SALU_CYCLE_1)
	s_and_not1_b32 exec_lo, exec_lo, s0
	s_cbranch_execnz .LBB70_40
.LBB70_41:
	s_or_b32 exec_lo, exec_lo, s1
	v_cmp_eq_u32_e32 vcc_lo, 0xff, v0
	v_cmp_lt_i32_e64 s0, -1, v9
	s_delay_alu instid0(VALU_DEP_1) | instskip(NEXT) | instid1(SALU_CYCLE_1)
	s_and_b32 s0, vcc_lo, s0
	s_and_b32 exec_lo, exec_lo, s0
	s_cbranch_execz .LBB70_44
; %bb.42:
	v_mov_b32_e32 v10, 0
	v_mul_f64 v[4:5], v[5:6], v[7:8]
	s_mov_b32 s0, 0
	s_delay_alu instid0(VALU_DEP_2) | instskip(NEXT) | instid1(VALU_DEP_1)
	v_lshlrev_b64 v[0:1], 3, v[9:10]
	v_add_co_u32 v9, vcc_lo, s2, v0
	s_delay_alu instid0(VALU_DEP_2)
	v_add_co_ci_u32_e32 v10, vcc_lo, s3, v1, vcc_lo
	global_load_b64 v[2:3], v[9:10], off
.LBB70_43:                              ; =>This Inner Loop Header: Depth=1
	s_waitcnt vmcnt(0)
	v_add_f64 v[0:1], v[2:3], v[4:5]
	global_atomic_cmpswap_b64 v[0:1], v[9:10], v[0:3], off glc
	s_waitcnt vmcnt(0)
	v_cmp_eq_u64_e32 vcc_lo, v[0:1], v[2:3]
	v_dual_mov_b32 v3, v1 :: v_dual_mov_b32 v2, v0
	s_or_b32 s0, vcc_lo, s0
	s_delay_alu instid0(SALU_CYCLE_1)
	s_and_not1_b32 exec_lo, exec_lo, s0
	s_cbranch_execnz .LBB70_43
.LBB70_44:
	s_endpgm
	.section	.rodata,"a",@progbits
	.p2align	6, 0x0
	.amdhsa_kernel _ZN9rocsparseL23coomvn_aos_atomic_loopsILj256ELj1EifdddEEvlNS_24const_host_device_scalarIT5_EEPKT1_PKT2_PKT3_PT4_21rocsparse_index_base_b
		.amdhsa_group_segment_fixed_size 3072
		.amdhsa_private_segment_fixed_size 0
		.amdhsa_kernarg_size 56
		.amdhsa_user_sgpr_count 15
		.amdhsa_user_sgpr_dispatch_ptr 0
		.amdhsa_user_sgpr_queue_ptr 0
		.amdhsa_user_sgpr_kernarg_segment_ptr 1
		.amdhsa_user_sgpr_dispatch_id 0
		.amdhsa_user_sgpr_private_segment_size 0
		.amdhsa_wavefront_size32 1
		.amdhsa_uses_dynamic_stack 0
		.amdhsa_enable_private_segment 0
		.amdhsa_system_sgpr_workgroup_id_x 1
		.amdhsa_system_sgpr_workgroup_id_y 0
		.amdhsa_system_sgpr_workgroup_id_z 0
		.amdhsa_system_sgpr_workgroup_info 0
		.amdhsa_system_vgpr_workitem_id 0
		.amdhsa_next_free_vgpr 14
		.amdhsa_next_free_sgpr 16
		.amdhsa_reserve_vcc 1
		.amdhsa_float_round_mode_32 0
		.amdhsa_float_round_mode_16_64 0
		.amdhsa_float_denorm_mode_32 3
		.amdhsa_float_denorm_mode_16_64 3
		.amdhsa_dx10_clamp 1
		.amdhsa_ieee_mode 1
		.amdhsa_fp16_overflow 0
		.amdhsa_workgroup_processor_mode 1
		.amdhsa_memory_ordered 1
		.amdhsa_forward_progress 0
		.amdhsa_shared_vgpr_count 0
		.amdhsa_exception_fp_ieee_invalid_op 0
		.amdhsa_exception_fp_denorm_src 0
		.amdhsa_exception_fp_ieee_div_zero 0
		.amdhsa_exception_fp_ieee_overflow 0
		.amdhsa_exception_fp_ieee_underflow 0
		.amdhsa_exception_fp_ieee_inexact 0
		.amdhsa_exception_int_div_zero 0
	.end_amdhsa_kernel
	.section	.text._ZN9rocsparseL23coomvn_aos_atomic_loopsILj256ELj1EifdddEEvlNS_24const_host_device_scalarIT5_EEPKT1_PKT2_PKT3_PT4_21rocsparse_index_base_b,"axG",@progbits,_ZN9rocsparseL23coomvn_aos_atomic_loopsILj256ELj1EifdddEEvlNS_24const_host_device_scalarIT5_EEPKT1_PKT2_PKT3_PT4_21rocsparse_index_base_b,comdat
.Lfunc_end70:
	.size	_ZN9rocsparseL23coomvn_aos_atomic_loopsILj256ELj1EifdddEEvlNS_24const_host_device_scalarIT5_EEPKT1_PKT2_PKT3_PT4_21rocsparse_index_base_b, .Lfunc_end70-_ZN9rocsparseL23coomvn_aos_atomic_loopsILj256ELj1EifdddEEvlNS_24const_host_device_scalarIT5_EEPKT1_PKT2_PKT3_PT4_21rocsparse_index_base_b
                                        ; -- End function
	.section	.AMDGPU.csdata,"",@progbits
; Kernel info:
; codeLenInByte = 1616
; NumSgprs: 18
; NumVgprs: 14
; ScratchSize: 0
; MemoryBound: 0
; FloatMode: 240
; IeeeMode: 1
; LDSByteSize: 3072 bytes/workgroup (compile time only)
; SGPRBlocks: 2
; VGPRBlocks: 1
; NumSGPRsForWavesPerEU: 18
; NumVGPRsForWavesPerEU: 14
; Occupancy: 16
; WaveLimiterHint : 1
; COMPUTE_PGM_RSRC2:SCRATCH_EN: 0
; COMPUTE_PGM_RSRC2:USER_SGPR: 15
; COMPUTE_PGM_RSRC2:TRAP_HANDLER: 0
; COMPUTE_PGM_RSRC2:TGID_X_EN: 1
; COMPUTE_PGM_RSRC2:TGID_Y_EN: 0
; COMPUTE_PGM_RSRC2:TGID_Z_EN: 0
; COMPUTE_PGM_RSRC2:TIDIG_COMP_CNT: 0
	.section	.text._ZN9rocsparseL17coomvt_aos_kernelILj1024EifdddEEv20rocsparse_operation_lNS_24const_host_device_scalarIT4_EEPKT0_PKT1_PKT2_PT3_21rocsparse_index_base_b,"axG",@progbits,_ZN9rocsparseL17coomvt_aos_kernelILj1024EifdddEEv20rocsparse_operation_lNS_24const_host_device_scalarIT4_EEPKT0_PKT1_PKT2_PT3_21rocsparse_index_base_b,comdat
	.globl	_ZN9rocsparseL17coomvt_aos_kernelILj1024EifdddEEv20rocsparse_operation_lNS_24const_host_device_scalarIT4_EEPKT0_PKT1_PKT2_PT3_21rocsparse_index_base_b ; -- Begin function _ZN9rocsparseL17coomvt_aos_kernelILj1024EifdddEEv20rocsparse_operation_lNS_24const_host_device_scalarIT4_EEPKT0_PKT1_PKT2_PT3_21rocsparse_index_base_b
	.p2align	8
	.type	_ZN9rocsparseL17coomvt_aos_kernelILj1024EifdddEEv20rocsparse_operation_lNS_24const_host_device_scalarIT4_EEPKT0_PKT1_PKT2_PT3_21rocsparse_index_base_b,@function
_ZN9rocsparseL17coomvt_aos_kernelILj1024EifdddEEv20rocsparse_operation_lNS_24const_host_device_scalarIT4_EEPKT0_PKT1_PKT2_PT3_21rocsparse_index_base_b: ; @_ZN9rocsparseL17coomvt_aos_kernelILj1024EifdddEEv20rocsparse_operation_lNS_24const_host_device_scalarIT4_EEPKT0_PKT1_PKT2_PT3_21rocsparse_index_base_b
; %bb.0:
	s_clause 0x1
	s_load_b64 s[2:3], s[0:1], 0x38
	s_load_b128 s[4:7], s[0:1], 0x8
	s_waitcnt lgkmcnt(0)
	s_bitcmp1_b32 s3, 0
	v_dual_mov_b32 v4, s6 :: v_dual_mov_b32 v5, s7
	s_cselect_b32 s3, -1, 0
	s_delay_alu instid0(SALU_CYCLE_1)
	s_and_b32 vcc_lo, exec_lo, s3
	s_cbranch_vccnz .LBB71_2
; %bb.1:
	v_dual_mov_b32 v1, s6 :: v_dual_mov_b32 v2, s7
	flat_load_b64 v[4:5], v[1:2]
.LBB71_2:
	s_mov_b32 s3, exec_lo
	s_waitcnt vmcnt(0) lgkmcnt(0)
	v_cmpx_neq_f64_e32 0, v[4:5]
	s_cbranch_execz .LBB71_6
; %bb.3:
	s_load_b32 s3, s[0:1], 0x4c
	s_waitcnt lgkmcnt(0)
	s_and_b32 s3, s3, 0xffff
	s_delay_alu instid0(SALU_CYCLE_1) | instskip(SKIP_1) | instid1(VALU_DEP_1)
	v_mad_u64_u32 v[1:2], null, s15, s3, v[0:1]
	v_mov_b32_e32 v2, 0
	v_cmp_gt_i64_e32 vcc_lo, s[4:5], v[1:2]
	s_and_b32 exec_lo, exec_lo, vcc_lo
	s_cbranch_execz .LBB71_6
; %bb.4:
	s_load_b256 s[4:11], s[0:1], 0x18
	v_lshlrev_b64 v[6:7], 3, v[1:2]
	v_lshlrev_b64 v[0:1], 2, v[1:2]
	s_mov_b32 s0, 0
	s_waitcnt lgkmcnt(0)
	s_delay_alu instid0(VALU_DEP_2) | instskip(NEXT) | instid1(VALU_DEP_3)
	v_add_co_u32 v6, vcc_lo, s4, v6
	v_add_co_ci_u32_e32 v7, vcc_lo, s5, v7, vcc_lo
	s_delay_alu instid0(VALU_DEP_3)
	v_add_co_u32 v0, vcc_lo, s6, v0
	v_add_co_ci_u32_e32 v1, vcc_lo, s7, v1, vcc_lo
	global_load_b64 v[6:7], v[6:7], off
	global_load_b32 v8, v[0:1], off
	s_waitcnt vmcnt(1)
	v_subrev_nc_u32_e32 v0, s2, v6
	v_subrev_nc_u32_e32 v2, s2, v7
	s_waitcnt vmcnt(0)
	v_cvt_f64_f32_e32 v[8:9], v8
	s_delay_alu instid0(VALU_DEP_3) | instskip(NEXT) | instid1(VALU_DEP_3)
	v_ashrrev_i32_e32 v1, 31, v0
	v_ashrrev_i32_e32 v3, 31, v2
	s_delay_alu instid0(VALU_DEP_2) | instskip(NEXT) | instid1(VALU_DEP_2)
	v_lshlrev_b64 v[0:1], 3, v[0:1]
	v_lshlrev_b64 v[2:3], 3, v[2:3]
	s_delay_alu instid0(VALU_DEP_2) | instskip(NEXT) | instid1(VALU_DEP_3)
	v_add_co_u32 v0, vcc_lo, s8, v0
	v_add_co_ci_u32_e32 v1, vcc_lo, s9, v1, vcc_lo
	s_delay_alu instid0(VALU_DEP_3) | instskip(NEXT) | instid1(VALU_DEP_4)
	v_add_co_u32 v6, vcc_lo, s10, v2
	v_add_co_ci_u32_e32 v7, vcc_lo, s11, v3, vcc_lo
	global_load_b64 v[0:1], v[0:1], off
	global_load_b64 v[2:3], v[6:7], off
	v_mul_f64 v[4:5], v[4:5], v[8:9]
	s_waitcnt vmcnt(1)
	s_delay_alu instid0(VALU_DEP_1)
	v_mul_f64 v[4:5], v[0:1], v[4:5]
.LBB71_5:                               ; =>This Inner Loop Header: Depth=1
	s_waitcnt vmcnt(0)
	s_delay_alu instid0(VALU_DEP_1)
	v_add_f64 v[0:1], v[2:3], v[4:5]
	global_atomic_cmpswap_b64 v[0:1], v[6:7], v[0:3], off glc
	s_waitcnt vmcnt(0)
	v_cmp_eq_u64_e32 vcc_lo, v[0:1], v[2:3]
	v_dual_mov_b32 v3, v1 :: v_dual_mov_b32 v2, v0
	s_or_b32 s0, vcc_lo, s0
	s_delay_alu instid0(SALU_CYCLE_1)
	s_and_not1_b32 exec_lo, exec_lo, s0
	s_cbranch_execnz .LBB71_5
.LBB71_6:
	s_endpgm
	.section	.rodata,"a",@progbits
	.p2align	6, 0x0
	.amdhsa_kernel _ZN9rocsparseL17coomvt_aos_kernelILj1024EifdddEEv20rocsparse_operation_lNS_24const_host_device_scalarIT4_EEPKT0_PKT1_PKT2_PT3_21rocsparse_index_base_b
		.amdhsa_group_segment_fixed_size 0
		.amdhsa_private_segment_fixed_size 0
		.amdhsa_kernarg_size 320
		.amdhsa_user_sgpr_count 15
		.amdhsa_user_sgpr_dispatch_ptr 0
		.amdhsa_user_sgpr_queue_ptr 0
		.amdhsa_user_sgpr_kernarg_segment_ptr 1
		.amdhsa_user_sgpr_dispatch_id 0
		.amdhsa_user_sgpr_private_segment_size 0
		.amdhsa_wavefront_size32 1
		.amdhsa_uses_dynamic_stack 0
		.amdhsa_enable_private_segment 0
		.amdhsa_system_sgpr_workgroup_id_x 1
		.amdhsa_system_sgpr_workgroup_id_y 0
		.amdhsa_system_sgpr_workgroup_id_z 0
		.amdhsa_system_sgpr_workgroup_info 0
		.amdhsa_system_vgpr_workitem_id 0
		.amdhsa_next_free_vgpr 10
		.amdhsa_next_free_sgpr 16
		.amdhsa_reserve_vcc 1
		.amdhsa_float_round_mode_32 0
		.amdhsa_float_round_mode_16_64 0
		.amdhsa_float_denorm_mode_32 3
		.amdhsa_float_denorm_mode_16_64 3
		.amdhsa_dx10_clamp 1
		.amdhsa_ieee_mode 1
		.amdhsa_fp16_overflow 0
		.amdhsa_workgroup_processor_mode 1
		.amdhsa_memory_ordered 1
		.amdhsa_forward_progress 0
		.amdhsa_shared_vgpr_count 0
		.amdhsa_exception_fp_ieee_invalid_op 0
		.amdhsa_exception_fp_denorm_src 0
		.amdhsa_exception_fp_ieee_div_zero 0
		.amdhsa_exception_fp_ieee_overflow 0
		.amdhsa_exception_fp_ieee_underflow 0
		.amdhsa_exception_fp_ieee_inexact 0
		.amdhsa_exception_int_div_zero 0
	.end_amdhsa_kernel
	.section	.text._ZN9rocsparseL17coomvt_aos_kernelILj1024EifdddEEv20rocsparse_operation_lNS_24const_host_device_scalarIT4_EEPKT0_PKT1_PKT2_PT3_21rocsparse_index_base_b,"axG",@progbits,_ZN9rocsparseL17coomvt_aos_kernelILj1024EifdddEEv20rocsparse_operation_lNS_24const_host_device_scalarIT4_EEPKT0_PKT1_PKT2_PT3_21rocsparse_index_base_b,comdat
.Lfunc_end71:
	.size	_ZN9rocsparseL17coomvt_aos_kernelILj1024EifdddEEv20rocsparse_operation_lNS_24const_host_device_scalarIT4_EEPKT0_PKT1_PKT2_PT3_21rocsparse_index_base_b, .Lfunc_end71-_ZN9rocsparseL17coomvt_aos_kernelILj1024EifdddEEv20rocsparse_operation_lNS_24const_host_device_scalarIT4_EEPKT0_PKT1_PKT2_PT3_21rocsparse_index_base_b
                                        ; -- End function
	.section	.AMDGPU.csdata,"",@progbits
; Kernel info:
; codeLenInByte = 396
; NumSgprs: 18
; NumVgprs: 10
; ScratchSize: 0
; MemoryBound: 0
; FloatMode: 240
; IeeeMode: 1
; LDSByteSize: 0 bytes/workgroup (compile time only)
; SGPRBlocks: 2
; VGPRBlocks: 1
; NumSGPRsForWavesPerEU: 18
; NumVGPRsForWavesPerEU: 10
; Occupancy: 16
; WaveLimiterHint : 1
; COMPUTE_PGM_RSRC2:SCRATCH_EN: 0
; COMPUTE_PGM_RSRC2:USER_SGPR: 15
; COMPUTE_PGM_RSRC2:TRAP_HANDLER: 0
; COMPUTE_PGM_RSRC2:TGID_X_EN: 1
; COMPUTE_PGM_RSRC2:TGID_Y_EN: 0
; COMPUTE_PGM_RSRC2:TGID_Z_EN: 0
; COMPUTE_PGM_RSRC2:TIDIG_COMP_CNT: 0
	.section	.text._ZN9rocsparseL26coomvn_aos_segmented_loopsILj256EifdddEEvlT0_NS_24const_host_device_scalarIT4_EEPKS1_PKT1_PKT2_PT3_PS1_PS3_21rocsparse_index_base_b,"axG",@progbits,_ZN9rocsparseL26coomvn_aos_segmented_loopsILj256EifdddEEvlT0_NS_24const_host_device_scalarIT4_EEPKS1_PKT1_PKT2_PT3_PS1_PS3_21rocsparse_index_base_b,comdat
	.globl	_ZN9rocsparseL26coomvn_aos_segmented_loopsILj256EifdddEEvlT0_NS_24const_host_device_scalarIT4_EEPKS1_PKT1_PKT2_PT3_PS1_PS3_21rocsparse_index_base_b ; -- Begin function _ZN9rocsparseL26coomvn_aos_segmented_loopsILj256EifdddEEvlT0_NS_24const_host_device_scalarIT4_EEPKS1_PKT1_PKT2_PT3_PS1_PS3_21rocsparse_index_base_b
	.p2align	8
	.type	_ZN9rocsparseL26coomvn_aos_segmented_loopsILj256EifdddEEvlT0_NS_24const_host_device_scalarIT4_EEPKS1_PKT1_PKT2_PT3_PS1_PS3_21rocsparse_index_base_b,@function
_ZN9rocsparseL26coomvn_aos_segmented_loopsILj256EifdddEEvlT0_NS_24const_host_device_scalarIT4_EEPKS1_PKT1_PKT2_PT3_PS1_PS3_21rocsparse_index_base_b: ; @_ZN9rocsparseL26coomvn_aos_segmented_loopsILj256EifdddEEvlT0_NS_24const_host_device_scalarIT4_EEPKS1_PKT1_PKT2_PT3_PS1_PS3_21rocsparse_index_base_b
; %bb.0:
	s_clause 0x1
	s_load_b64 s[22:23], s[0:1], 0x48
	s_load_b64 s[2:3], s[0:1], 0x10
	s_mov_b32 s20, s15
	s_waitcnt lgkmcnt(0)
	s_bitcmp1_b32 s23, 0
	v_dual_mov_b32 v1, s2 :: v_dual_mov_b32 v2, s3
	s_cselect_b32 s4, -1, 0
	s_delay_alu instid0(SALU_CYCLE_1)
	s_and_b32 vcc_lo, exec_lo, s4
	s_cbranch_vccnz .LBB72_2
; %bb.1:
	v_dual_mov_b32 v1, s2 :: v_dual_mov_b32 v2, s3
	flat_load_b64 v[1:2], v[1:2]
.LBB72_2:
	s_mov_b32 s2, exec_lo
	s_waitcnt vmcnt(0) lgkmcnt(0)
	v_cmpx_neq_f64_e32 0, v[1:2]
	s_cbranch_execz .LBB72_89
; %bb.3:
	s_clause 0x3
	s_load_b32 s21, s[0:1], 0x8
	s_load_b64 s[24:25], s[0:1], 0x0
	s_load_b128 s[16:19], s[0:1], 0x18
	s_load_b64 s[28:29], s[0:1], 0x28
	v_dual_mov_b32 v8, 0 :: v_dual_mov_b32 v5, 0
	v_dual_mov_b32 v6, 0 :: v_dual_mov_b32 v3, -1
	s_waitcnt lgkmcnt(0)
	s_mul_i32 s2, s20, s21
	s_delay_alu instid0(SALU_CYCLE_1) | instskip(SKIP_1) | instid1(VALU_DEP_1)
	v_lshl_or_b32 v7, s2, 8, v0
	s_mov_b32 s2, exec_lo
	v_lshlrev_b64 v[9:10], 3, v[7:8]
	v_lshlrev_b64 v[11:12], 2, v[7:8]
	v_cmpx_gt_i64_e64 s[24:25], v[7:8]
	s_cbranch_execz .LBB72_5
; %bb.4:
	s_delay_alu instid0(VALU_DEP_3) | instskip(NEXT) | instid1(VALU_DEP_4)
	v_add_co_u32 v3, vcc_lo, s16, v9
	v_add_co_ci_u32_e32 v4, vcc_lo, s17, v10, vcc_lo
	s_delay_alu instid0(VALU_DEP_4)
	v_add_co_u32 v5, vcc_lo, s18, v11
	v_add_co_ci_u32_e32 v6, vcc_lo, s19, v12, vcc_lo
	global_load_b64 v[3:4], v[3:4], off slc dlc
	s_ashr_i32 s23, s22, 31
	global_load_b32 v6, v[5:6], off slc dlc
	s_lshl_b64 s[4:5], s[22:23], 3
	s_waitcnt vmcnt(1)
	v_ashrrev_i32_e32 v5, 31, v4
	v_subrev_nc_u32_e32 v3, s22, v3
	s_waitcnt vmcnt(0)
	v_cvt_f64_f32_e32 v[13:14], v6
	s_delay_alu instid0(VALU_DEP_3) | instskip(NEXT) | instid1(VALU_DEP_1)
	v_lshlrev_b64 v[4:5], 3, v[4:5]
	v_add_co_u32 v4, vcc_lo, s28, v4
	s_delay_alu instid0(VALU_DEP_2) | instskip(NEXT) | instid1(VALU_DEP_2)
	v_add_co_ci_u32_e32 v5, vcc_lo, s29, v5, vcc_lo
	v_sub_co_u32 v4, vcc_lo, v4, s4
	s_delay_alu instid0(VALU_DEP_2)
	v_subrev_co_ci_u32_e32 v5, vcc_lo, s5, v5, vcc_lo
	global_load_b64 v[4:5], v[4:5], off
	s_waitcnt vmcnt(0)
	v_mul_f64 v[5:6], v[4:5], v[13:14]
.LBB72_5:
	s_or_b32 exec_lo, exec_lo, s2
	v_lshlrev_b32_e32 v4, 2, v0
	v_lshlrev_b32_e32 v15, 3, v0
	v_cmp_eq_u32_e32 vcc_lo, 0, v0
	v_cmp_ne_u32_e64 s2, 0, v0
	ds_store_b32 v4, v3 offset:2048
	ds_store_b64 v15, v[5:6]
	v_or_b32_e32 v14, 0x800, v4
	s_waitcnt lgkmcnt(0)
	s_barrier
	buffer_gl0_inv
	v_add_nc_u32_e32 v16, -4, v14
	s_and_saveexec_b32 s4, s2
	s_cbranch_execz .LBB72_9
; %bb.6:
	ds_load_b32 v4, v16
	s_mov_b32 s5, exec_lo
	s_waitcnt lgkmcnt(0)
	v_cmpx_eq_u32_e64 v3, v4
	s_cbranch_execz .LBB72_8
; %bb.7:
	v_add_nc_u32_e32 v4, -8, v15
	ds_load_b64 v[17:18], v4
	s_waitcnt lgkmcnt(0)
	v_add_f64 v[5:6], v[5:6], v[17:18]
.LBB72_8:
	s_or_b32 exec_lo, exec_lo, s5
.LBB72_9:
	s_delay_alu instid0(SALU_CYCLE_1)
	s_or_b32 exec_lo, exec_lo, s4
	v_cmp_lt_u32_e64 s3, 1, v0
	v_add_nc_u32_e32 v17, -8, v14
	s_barrier
	buffer_gl0_inv
	ds_store_b64 v15, v[5:6]
	s_waitcnt lgkmcnt(0)
	s_barrier
	buffer_gl0_inv
	s_and_saveexec_b32 s5, s3
	s_cbranch_execz .LBB72_13
; %bb.10:
	ds_load_b32 v4, v17
	s_mov_b32 s6, exec_lo
	s_waitcnt lgkmcnt(0)
	v_cmpx_eq_u32_e64 v3, v4
	s_cbranch_execz .LBB72_12
; %bb.11:
	v_add_nc_u32_e32 v4, -16, v15
	ds_load_b64 v[18:19], v4
	s_waitcnt lgkmcnt(0)
	v_add_f64 v[5:6], v[5:6], v[18:19]
.LBB72_12:
	s_or_b32 exec_lo, exec_lo, s6
.LBB72_13:
	s_delay_alu instid0(SALU_CYCLE_1)
	s_or_b32 exec_lo, exec_lo, s5
	v_cmp_lt_u32_e64 s4, 3, v0
	v_add_nc_u32_e32 v18, -16, v14
	s_barrier
	buffer_gl0_inv
	ds_store_b64 v15, v[5:6]
	s_waitcnt lgkmcnt(0)
	s_barrier
	buffer_gl0_inv
	s_and_saveexec_b32 s6, s4
	s_cbranch_execz .LBB72_17
; %bb.14:
	ds_load_b32 v4, v18
	s_mov_b32 s7, exec_lo
	s_waitcnt lgkmcnt(0)
	v_cmpx_eq_u32_e64 v3, v4
	s_cbranch_execz .LBB72_16
; %bb.15:
	v_subrev_nc_u32_e32 v4, 32, v15
	ds_load_b64 v[19:20], v4
	s_waitcnt lgkmcnt(0)
	v_add_f64 v[5:6], v[5:6], v[19:20]
.LBB72_16:
	s_or_b32 exec_lo, exec_lo, s7
.LBB72_17:
	s_delay_alu instid0(SALU_CYCLE_1)
	s_or_b32 exec_lo, exec_lo, s6
	v_cmp_lt_u32_e64 s5, 7, v0
	v_subrev_nc_u32_e32 v19, 32, v14
	s_barrier
	buffer_gl0_inv
	ds_store_b64 v15, v[5:6]
	s_waitcnt lgkmcnt(0)
	s_barrier
	buffer_gl0_inv
	s_and_saveexec_b32 s7, s5
	s_cbranch_execz .LBB72_21
; %bb.18:
	ds_load_b32 v4, v19
	s_mov_b32 s8, exec_lo
	s_waitcnt lgkmcnt(0)
	v_cmpx_eq_u32_e64 v3, v4
	s_cbranch_execz .LBB72_20
; %bb.19:
	v_subrev_nc_u32_e32 v4, 64, v15
	ds_load_b64 v[20:21], v4
	s_waitcnt lgkmcnt(0)
	v_add_f64 v[5:6], v[5:6], v[20:21]
.LBB72_20:
	s_or_b32 exec_lo, exec_lo, s8
.LBB72_21:
	s_delay_alu instid0(SALU_CYCLE_1)
	s_or_b32 exec_lo, exec_lo, s7
	v_cmp_lt_u32_e64 s6, 15, v0
	v_subrev_nc_u32_e32 v20, 64, v14
	s_barrier
	buffer_gl0_inv
	ds_store_b64 v15, v[5:6]
	s_waitcnt lgkmcnt(0)
	s_barrier
	buffer_gl0_inv
	s_and_saveexec_b32 s8, s6
	s_cbranch_execz .LBB72_25
; %bb.22:
	ds_load_b32 v4, v20
	s_mov_b32 s9, exec_lo
	s_waitcnt lgkmcnt(0)
	v_cmpx_eq_u32_e64 v3, v4
	s_cbranch_execz .LBB72_24
; %bb.23:
	v_add_nc_u32_e32 v4, 0xffffff80, v15
	ds_load_b64 v[21:22], v4
	s_waitcnt lgkmcnt(0)
	v_add_f64 v[5:6], v[5:6], v[21:22]
.LBB72_24:
	s_or_b32 exec_lo, exec_lo, s9
.LBB72_25:
	s_delay_alu instid0(SALU_CYCLE_1)
	s_or_b32 exec_lo, exec_lo, s8
	v_cmp_lt_u32_e64 s7, 31, v0
	v_add_nc_u32_e32 v21, 0xffffff80, v14
	s_barrier
	buffer_gl0_inv
	ds_store_b64 v15, v[5:6]
	s_waitcnt lgkmcnt(0)
	s_barrier
	buffer_gl0_inv
	s_and_saveexec_b32 s9, s7
	s_cbranch_execz .LBB72_29
; %bb.26:
	ds_load_b32 v4, v21
	s_mov_b32 s10, exec_lo
	s_waitcnt lgkmcnt(0)
	v_cmpx_eq_u32_e64 v3, v4
	s_cbranch_execz .LBB72_28
; %bb.27:
	v_add_nc_u32_e32 v4, 0xffffff00, v15
	ds_load_b64 v[22:23], v4
	s_waitcnt lgkmcnt(0)
	v_add_f64 v[5:6], v[5:6], v[22:23]
.LBB72_28:
	s_or_b32 exec_lo, exec_lo, s10
.LBB72_29:
	s_delay_alu instid0(SALU_CYCLE_1)
	s_or_b32 exec_lo, exec_lo, s9
	v_cmp_lt_u32_e64 s8, 63, v0
	v_add_nc_u32_e32 v22, 0xffffff00, v14
	s_barrier
	buffer_gl0_inv
	ds_store_b64 v15, v[5:6]
	s_waitcnt lgkmcnt(0)
	s_barrier
	buffer_gl0_inv
	s_and_saveexec_b32 s10, s8
	s_cbranch_execz .LBB72_33
; %bb.30:
	ds_load_b32 v4, v22
	s_mov_b32 s11, exec_lo
	s_waitcnt lgkmcnt(0)
	v_cmpx_eq_u32_e64 v3, v4
	s_cbranch_execz .LBB72_32
; %bb.31:
	v_add_nc_u32_e32 v4, 0xfffffe00, v15
	ds_load_b64 v[23:24], v4
	s_waitcnt lgkmcnt(0)
	v_add_f64 v[5:6], v[5:6], v[23:24]
.LBB72_32:
	s_or_b32 exec_lo, exec_lo, s11
.LBB72_33:
	s_delay_alu instid0(SALU_CYCLE_1)
	s_or_b32 exec_lo, exec_lo, s10
	s_load_b64 s[26:27], s[0:1], 0x30
	v_cmp_lt_u32_e64 s9, 0x7f, v0
	v_add_nc_u32_e32 v23, 0xfffffe00, v14
	s_waitcnt lgkmcnt(0)
	s_barrier
	buffer_gl0_inv
	ds_store_b64 v15, v[5:6]
	s_waitcnt lgkmcnt(0)
	s_barrier
	buffer_gl0_inv
	s_and_saveexec_b32 s11, s9
	s_cbranch_execz .LBB72_37
; %bb.34:
	ds_load_b32 v4, v23
	s_mov_b32 s12, exec_lo
	s_waitcnt lgkmcnt(0)
	v_cmpx_eq_u32_e64 v3, v4
	s_cbranch_execz .LBB72_36
; %bb.35:
	v_add_nc_u32_e32 v4, 0xfffffc00, v15
	ds_load_b64 v[24:25], v4
	s_waitcnt lgkmcnt(0)
	v_add_f64 v[5:6], v[5:6], v[24:25]
.LBB72_36:
	s_or_b32 exec_lo, exec_lo, s12
.LBB72_37:
	s_delay_alu instid0(SALU_CYCLE_1)
	s_or_b32 exec_lo, exec_lo, s11
	v_cmp_gt_u32_e64 s10, 0xff, v0
	s_barrier
	buffer_gl0_inv
	ds_store_b64 v15, v[5:6]
	s_waitcnt lgkmcnt(0)
	s_barrier
	buffer_gl0_inv
	s_and_saveexec_b32 s13, s10
	s_cbranch_execz .LBB72_40
; %bb.38:
	ds_load_b32 v4, v14 offset:4
	v_cmp_lt_i32_e64 s12, -1, v3
	s_waitcnt lgkmcnt(0)
	v_cmp_ne_u32_e64 s11, v3, v4
	s_delay_alu instid0(VALU_DEP_1) | instskip(NEXT) | instid1(SALU_CYCLE_1)
	s_and_b32 s11, s12, s11
	s_and_b32 exec_lo, exec_lo, s11
	s_cbranch_execz .LBB72_40
; %bb.39:
	v_mov_b32_e32 v4, 0
	s_delay_alu instid0(VALU_DEP_1) | instskip(NEXT) | instid1(VALU_DEP_1)
	v_lshlrev_b64 v[24:25], 3, v[3:4]
	v_add_co_u32 v24, s11, s26, v24
	s_delay_alu instid0(VALU_DEP_1)
	v_add_co_ci_u32_e64 v25, s11, s27, v25, s11
	global_load_b64 v[26:27], v[24:25], off
	s_waitcnt vmcnt(0)
	v_fma_f64 v[26:27], v[1:2], v[5:6], v[26:27]
	global_store_b64 v[24:25], v[26:27], off
.LBB72_40:
	s_or_b32 exec_lo, exec_lo, s13
	s_load_b128 s[12:15], s[0:1], 0x38
	s_cmp_lt_i32 s21, 2
	s_cbranch_scc1 .LBB72_87
; %bb.41:
	s_ashr_i32 s23, s22, 31
	v_add_nc_u32_e32 v24, -8, v15
	s_lshl_b64 s[0:1], s[22:23], 3
	v_add_nc_u32_e32 v25, -16, v15
	s_sub_u32 s11, s28, s0
	v_add_co_u32 v3, s0, v11, s18
	s_delay_alu instid0(VALU_DEP_1) | instskip(SKIP_1) | instid1(VALU_DEP_1)
	v_add_co_ci_u32_e64 v4, s0, s19, v12, s0
	v_add_co_u32 v5, s0, v9, s16
	v_add_co_ci_u32_e64 v6, s0, s17, v10, s0
	s_delay_alu instid0(VALU_DEP_4) | instskip(NEXT) | instid1(VALU_DEP_1)
	v_add_co_u32 v8, s0, 0x400, v3
	v_add_co_ci_u32_e64 v9, s0, 0, v4, s0
	v_mov_b32_e32 v4, 0
	v_add_co_u32 v10, s0, 0x800, v5
	s_delay_alu instid0(VALU_DEP_1)
	v_add_co_ci_u32_e64 v11, s0, 0, v6, s0
	v_add_co_u32 v12, s0, 0x100, v7
	v_subrev_nc_u32_e32 v26, 32, v15
	v_subrev_nc_u32_e32 v27, 64, v15
	v_add_nc_u32_e32 v28, 0xffffff80, v15
	v_add_nc_u32_e32 v29, 0xffffff00, v15
	;; [unrolled: 1-line block ×4, first 2 shown]
	v_add_co_ci_u32_e64 v13, null, 0, 0, s0
	s_subb_u32 s18, s29, s1
	s_add_i32 s19, s21, -1
	s_mov_b32 s17, 0
	s_branch .LBB72_43
.LBB72_42:                              ;   in Loop: Header=BB72_43 Depth=1
	s_or_b32 exec_lo, exec_lo, s16
	v_add_co_u32 v8, s0, 0x400, v8
	s_delay_alu instid0(VALU_DEP_1) | instskip(SKIP_1) | instid1(VALU_DEP_1)
	v_add_co_ci_u32_e64 v9, s0, 0, v9, s0
	v_add_co_u32 v10, s0, 0x800, v10
	v_add_co_ci_u32_e64 v11, s0, 0, v11, s0
	v_add_co_u32 v12, s0, 0x100, v12
	s_delay_alu instid0(VALU_DEP_1) | instskip(SKIP_1) | instid1(SALU_CYCLE_1)
	v_add_co_ci_u32_e64 v13, s0, 0, v13, s0
	s_add_i32 s19, s19, -1
	s_cmp_eq_u32 s19, 0
	s_cbranch_scc1 .LBB72_87
.LBB72_43:                              ; =>This Inner Loop Header: Depth=1
	v_mov_b32_e32 v5, 0
	v_dual_mov_b32 v6, 0 :: v_dual_mov_b32 v3, -1
	s_mov_b32 s1, exec_lo
	v_cmpx_gt_i64_e64 s[24:25], v[12:13]
	s_cbranch_execz .LBB72_45
; %bb.44:                               ;   in Loop: Header=BB72_43 Depth=1
	global_load_b64 v[32:33], v[10:11], off slc dlc
	global_load_b32 v3, v[8:9], off slc dlc
	s_waitcnt vmcnt(1)
	v_ashrrev_i32_e32 v6, 31, v33
	v_mov_b32_e32 v5, v33
	s_waitcnt vmcnt(0)
	v_cvt_f64_f32_e32 v[33:34], v3
	v_subrev_nc_u32_e32 v3, s22, v32
	s_delay_alu instid0(VALU_DEP_3) | instskip(NEXT) | instid1(VALU_DEP_1)
	v_lshlrev_b64 v[5:6], 3, v[5:6]
	v_add_co_u32 v5, s0, s11, v5
	s_delay_alu instid0(VALU_DEP_1)
	v_add_co_ci_u32_e64 v6, s0, s18, v6, s0
	global_load_b64 v[5:6], v[5:6], off
	s_waitcnt vmcnt(0)
	v_mul_f64 v[5:6], v[5:6], v[33:34]
.LBB72_45:                              ;   in Loop: Header=BB72_43 Depth=1
	s_or_b32 exec_lo, exec_lo, s1
	s_and_saveexec_b32 s1, vcc_lo
	s_cbranch_execz .LBB72_52
; %bb.46:                               ;   in Loop: Header=BB72_43 Depth=1
	ds_load_b32 v7, v4 offset:3068
	s_waitcnt lgkmcnt(0)
	v_readfirstlane_b32 s16, v7
	v_cmp_ne_u32_e64 s0, v3, v7
	s_delay_alu instid0(VALU_DEP_1) | instskip(NEXT) | instid1(SALU_CYCLE_1)
	s_and_saveexec_b32 s21, s0
	s_xor_b32 s0, exec_lo, s21
	s_cbranch_execz .LBB72_49
; %bb.47:                               ;   in Loop: Header=BB72_43 Depth=1
	s_cmp_lt_i32 s16, 0
	s_cbranch_scc1 .LBB72_49
; %bb.48:                               ;   in Loop: Header=BB72_43 Depth=1
	s_lshl_b64 s[28:29], s[16:17], 3
	ds_load_b64 v[34:35], v4 offset:2040
	s_add_u32 s28, s26, s28
	s_addc_u32 s29, s27, s29
	global_load_b64 v[32:33], v4, s[28:29]
	s_waitcnt vmcnt(0) lgkmcnt(0)
	v_fma_f64 v[32:33], v[1:2], v[34:35], v[32:33]
	global_store_b64 v4, v[32:33], s[28:29]
.LBB72_49:                              ;   in Loop: Header=BB72_43 Depth=1
	s_and_not1_saveexec_b32 s0, s0
	s_cbranch_execz .LBB72_51
; %bb.50:                               ;   in Loop: Header=BB72_43 Depth=1
	ds_load_b64 v[32:33], v4 offset:2040
	s_waitcnt lgkmcnt(0)
	v_add_f64 v[5:6], v[5:6], v[32:33]
.LBB72_51:                              ;   in Loop: Header=BB72_43 Depth=1
	s_or_b32 exec_lo, exec_lo, s0
.LBB72_52:                              ;   in Loop: Header=BB72_43 Depth=1
	s_delay_alu instid0(SALU_CYCLE_1)
	s_or_b32 exec_lo, exec_lo, s1
	s_waitcnt lgkmcnt(0)
	s_waitcnt_vscnt null, 0x0
	s_barrier
	buffer_gl0_inv
	ds_store_b32 v14, v3
	ds_store_b64 v15, v[5:6]
	s_waitcnt lgkmcnt(0)
	s_barrier
	buffer_gl0_inv
	s_and_saveexec_b32 s1, s2
	s_cbranch_execz .LBB72_56
; %bb.53:                               ;   in Loop: Header=BB72_43 Depth=1
	ds_load_b32 v7, v16
	s_mov_b32 s16, exec_lo
	s_waitcnt lgkmcnt(0)
	v_cmpx_eq_u32_e64 v3, v7
	s_cbranch_execz .LBB72_55
; %bb.54:                               ;   in Loop: Header=BB72_43 Depth=1
	ds_load_b64 v[32:33], v24
	s_waitcnt lgkmcnt(0)
	v_add_f64 v[5:6], v[5:6], v[32:33]
.LBB72_55:                              ;   in Loop: Header=BB72_43 Depth=1
	s_or_b32 exec_lo, exec_lo, s16
.LBB72_56:                              ;   in Loop: Header=BB72_43 Depth=1
	s_delay_alu instid0(SALU_CYCLE_1)
	s_or_b32 exec_lo, exec_lo, s1
	s_barrier
	buffer_gl0_inv
	ds_store_b64 v15, v[5:6]
	s_waitcnt lgkmcnt(0)
	s_barrier
	buffer_gl0_inv
	s_and_saveexec_b32 s1, s3
	s_cbranch_execz .LBB72_60
; %bb.57:                               ;   in Loop: Header=BB72_43 Depth=1
	ds_load_b32 v7, v17
	s_mov_b32 s16, exec_lo
	s_waitcnt lgkmcnt(0)
	v_cmpx_eq_u32_e64 v3, v7
	s_cbranch_execz .LBB72_59
; %bb.58:                               ;   in Loop: Header=BB72_43 Depth=1
	ds_load_b64 v[32:33], v25
	s_waitcnt lgkmcnt(0)
	v_add_f64 v[5:6], v[5:6], v[32:33]
.LBB72_59:                              ;   in Loop: Header=BB72_43 Depth=1
	s_or_b32 exec_lo, exec_lo, s16
.LBB72_60:                              ;   in Loop: Header=BB72_43 Depth=1
	s_delay_alu instid0(SALU_CYCLE_1)
	s_or_b32 exec_lo, exec_lo, s1
	s_barrier
	buffer_gl0_inv
	;; [unrolled: 23-line block ×8, first 2 shown]
	ds_store_b64 v15, v[5:6]
	s_waitcnt lgkmcnt(0)
	s_barrier
	buffer_gl0_inv
	s_and_saveexec_b32 s16, s10
	s_cbranch_execz .LBB72_42
; %bb.85:                               ;   in Loop: Header=BB72_43 Depth=1
	ds_load_b32 v7, v14 offset:4
	v_cmp_lt_i32_e64 s1, -1, v3
	s_waitcnt lgkmcnt(0)
	v_cmp_ne_u32_e64 s0, v3, v7
	s_delay_alu instid0(VALU_DEP_1) | instskip(NEXT) | instid1(SALU_CYCLE_1)
	s_and_b32 s0, s1, s0
	s_and_b32 exec_lo, exec_lo, s0
	s_cbranch_execz .LBB72_42
; %bb.86:                               ;   in Loop: Header=BB72_43 Depth=1
	v_lshlrev_b64 v[32:33], 3, v[3:4]
	s_delay_alu instid0(VALU_DEP_1) | instskip(NEXT) | instid1(VALU_DEP_1)
	v_add_co_u32 v32, s0, s26, v32
	v_add_co_ci_u32_e64 v33, s0, s27, v33, s0
	global_load_b64 v[34:35], v[32:33], off
	s_waitcnt vmcnt(0)
	v_fma_f64 v[34:35], v[1:2], v[5:6], v[34:35]
	global_store_b64 v[32:33], v[34:35], off
	s_branch .LBB72_42
.LBB72_87:
	v_cmp_eq_u32_e32 vcc_lo, 0xff, v0
	s_and_b32 exec_lo, exec_lo, vcc_lo
	s_cbranch_execz .LBB72_89
; %bb.88:
	v_mul_f64 v[0:1], v[1:2], v[5:6]
	s_mov_b32 s21, 0
	v_mov_b32_e32 v2, 0
	s_lshl_b64 s[0:1], s[20:21], 2
	s_waitcnt lgkmcnt(0)
	s_add_u32 s0, s12, s0
	s_addc_u32 s1, s13, s1
	s_lshl_b64 s[2:3], s[20:21], 3
	s_delay_alu instid0(SALU_CYCLE_1)
	s_add_u32 s2, s14, s2
	s_addc_u32 s3, s15, s3
	s_clause 0x1
	global_store_b32 v2, v3, s[0:1] glc slc dlc
	global_store_b64 v2, v[0:1], s[2:3] glc slc dlc
.LBB72_89:
	s_nop 0
	s_sendmsg sendmsg(MSG_DEALLOC_VGPRS)
	s_endpgm
	.section	.rodata,"a",@progbits
	.p2align	6, 0x0
	.amdhsa_kernel _ZN9rocsparseL26coomvn_aos_segmented_loopsILj256EifdddEEvlT0_NS_24const_host_device_scalarIT4_EEPKS1_PKT1_PKT2_PT3_PS1_PS3_21rocsparse_index_base_b
		.amdhsa_group_segment_fixed_size 3072
		.amdhsa_private_segment_fixed_size 0
		.amdhsa_kernarg_size 80
		.amdhsa_user_sgpr_count 15
		.amdhsa_user_sgpr_dispatch_ptr 0
		.amdhsa_user_sgpr_queue_ptr 0
		.amdhsa_user_sgpr_kernarg_segment_ptr 1
		.amdhsa_user_sgpr_dispatch_id 0
		.amdhsa_user_sgpr_private_segment_size 0
		.amdhsa_wavefront_size32 1
		.amdhsa_uses_dynamic_stack 0
		.amdhsa_enable_private_segment 0
		.amdhsa_system_sgpr_workgroup_id_x 1
		.amdhsa_system_sgpr_workgroup_id_y 0
		.amdhsa_system_sgpr_workgroup_id_z 0
		.amdhsa_system_sgpr_workgroup_info 0
		.amdhsa_system_vgpr_workitem_id 0
		.amdhsa_next_free_vgpr 36
		.amdhsa_next_free_sgpr 30
		.amdhsa_reserve_vcc 1
		.amdhsa_float_round_mode_32 0
		.amdhsa_float_round_mode_16_64 0
		.amdhsa_float_denorm_mode_32 3
		.amdhsa_float_denorm_mode_16_64 3
		.amdhsa_dx10_clamp 1
		.amdhsa_ieee_mode 1
		.amdhsa_fp16_overflow 0
		.amdhsa_workgroup_processor_mode 1
		.amdhsa_memory_ordered 1
		.amdhsa_forward_progress 0
		.amdhsa_shared_vgpr_count 0
		.amdhsa_exception_fp_ieee_invalid_op 0
		.amdhsa_exception_fp_denorm_src 0
		.amdhsa_exception_fp_ieee_div_zero 0
		.amdhsa_exception_fp_ieee_overflow 0
		.amdhsa_exception_fp_ieee_underflow 0
		.amdhsa_exception_fp_ieee_inexact 0
		.amdhsa_exception_int_div_zero 0
	.end_amdhsa_kernel
	.section	.text._ZN9rocsparseL26coomvn_aos_segmented_loopsILj256EifdddEEvlT0_NS_24const_host_device_scalarIT4_EEPKS1_PKT1_PKT2_PT3_PS1_PS3_21rocsparse_index_base_b,"axG",@progbits,_ZN9rocsparseL26coomvn_aos_segmented_loopsILj256EifdddEEvlT0_NS_24const_host_device_scalarIT4_EEPKS1_PKT1_PKT2_PT3_PS1_PS3_21rocsparse_index_base_b,comdat
.Lfunc_end72:
	.size	_ZN9rocsparseL26coomvn_aos_segmented_loopsILj256EifdddEEvlT0_NS_24const_host_device_scalarIT4_EEPKS1_PKT1_PKT2_PT3_PS1_PS3_21rocsparse_index_base_b, .Lfunc_end72-_ZN9rocsparseL26coomvn_aos_segmented_loopsILj256EifdddEEvlT0_NS_24const_host_device_scalarIT4_EEPKS1_PKT1_PKT2_PT3_PS1_PS3_21rocsparse_index_base_b
                                        ; -- End function
	.section	.AMDGPU.csdata,"",@progbits
; Kernel info:
; codeLenInByte = 3168
; NumSgprs: 32
; NumVgprs: 36
; ScratchSize: 0
; MemoryBound: 0
; FloatMode: 240
; IeeeMode: 1
; LDSByteSize: 3072 bytes/workgroup (compile time only)
; SGPRBlocks: 3
; VGPRBlocks: 4
; NumSGPRsForWavesPerEU: 32
; NumVGPRsForWavesPerEU: 36
; Occupancy: 16
; WaveLimiterHint : 1
; COMPUTE_PGM_RSRC2:SCRATCH_EN: 0
; COMPUTE_PGM_RSRC2:USER_SGPR: 15
; COMPUTE_PGM_RSRC2:TRAP_HANDLER: 0
; COMPUTE_PGM_RSRC2:TGID_X_EN: 1
; COMPUTE_PGM_RSRC2:TGID_Y_EN: 0
; COMPUTE_PGM_RSRC2:TGID_Z_EN: 0
; COMPUTE_PGM_RSRC2:TIDIG_COMP_CNT: 0
	.section	.text._ZN9rocsparseL23coomvn_aos_atomic_loopsILj256ELj1ElfdddEEvlNS_24const_host_device_scalarIT5_EEPKT1_PKT2_PKT3_PT4_21rocsparse_index_base_b,"axG",@progbits,_ZN9rocsparseL23coomvn_aos_atomic_loopsILj256ELj1ElfdddEEvlNS_24const_host_device_scalarIT5_EEPKT1_PKT2_PKT3_PT4_21rocsparse_index_base_b,comdat
	.globl	_ZN9rocsparseL23coomvn_aos_atomic_loopsILj256ELj1ElfdddEEvlNS_24const_host_device_scalarIT5_EEPKT1_PKT2_PKT3_PT4_21rocsparse_index_base_b ; -- Begin function _ZN9rocsparseL23coomvn_aos_atomic_loopsILj256ELj1ElfdddEEvlNS_24const_host_device_scalarIT5_EEPKT1_PKT2_PKT3_PT4_21rocsparse_index_base_b
	.p2align	8
	.type	_ZN9rocsparseL23coomvn_aos_atomic_loopsILj256ELj1ElfdddEEvlNS_24const_host_device_scalarIT5_EEPKT1_PKT2_PKT3_PT4_21rocsparse_index_base_b,@function
_ZN9rocsparseL23coomvn_aos_atomic_loopsILj256ELj1ElfdddEEvlNS_24const_host_device_scalarIT5_EEPKT1_PKT2_PKT3_PT4_21rocsparse_index_base_b: ; @_ZN9rocsparseL23coomvn_aos_atomic_loopsILj256ELj1ElfdddEEvlNS_24const_host_device_scalarIT5_EEPKT1_PKT2_PKT3_PT4_21rocsparse_index_base_b
; %bb.0:
	s_clause 0x1
	s_load_b64 s[2:3], s[0:1], 0x30
	s_load_b128 s[4:7], s[0:1], 0x0
	s_waitcnt lgkmcnt(0)
	s_bitcmp1_b32 s3, 0
	v_dual_mov_b32 v5, s6 :: v_dual_mov_b32 v6, s7
	s_cselect_b32 s3, -1, 0
	s_delay_alu instid0(SALU_CYCLE_1)
	s_and_b32 vcc_lo, exec_lo, s3
	s_cbranch_vccnz .LBB73_2
; %bb.1:
	v_dual_mov_b32 v1, s6 :: v_dual_mov_b32 v2, s7
	flat_load_b64 v[5:6], v[1:2]
.LBB73_2:
	s_mov_b32 s3, exec_lo
	s_waitcnt vmcnt(0) lgkmcnt(0)
	v_cmpx_neq_f64_e32 0, v[5:6]
	s_cbranch_execz .LBB73_44
; %bb.3:
	v_dual_mov_b32 v2, 0 :: v_dual_mov_b32 v7, 0
	v_dual_mov_b32 v8, 0 :: v_dual_mov_b32 v9, -1
	v_lshl_or_b32 v1, s15, 8, v0
	v_mov_b32_e32 v10, -1
	s_mov_b32 s3, exec_lo
	s_delay_alu instid0(VALU_DEP_2)
	v_cmpx_gt_i64_e64 s[4:5], v[1:2]
	s_cbranch_execz .LBB73_5
; %bb.4:
	s_clause 0x1
	s_load_b128 s[4:7], s[0:1], 0x10
	s_load_b64 s[8:9], s[0:1], 0x20
	v_lshlrev_b64 v[3:4], 4, v[1:2]
	v_lshlrev_b64 v[1:2], 2, v[1:2]
	s_waitcnt lgkmcnt(0)
	s_delay_alu instid0(VALU_DEP_2) | instskip(NEXT) | instid1(VALU_DEP_3)
	v_add_co_u32 v3, vcc_lo, s4, v3
	v_add_co_ci_u32_e32 v4, vcc_lo, s5, v4, vcc_lo
	s_delay_alu instid0(VALU_DEP_3) | instskip(NEXT) | instid1(VALU_DEP_4)
	v_add_co_u32 v1, vcc_lo, s6, v1
	v_add_co_ci_u32_e32 v2, vcc_lo, s7, v2, vcc_lo
	global_load_b128 v[9:12], v[3:4], off slc dlc
	global_load_b32 v3, v[1:2], off slc dlc
	s_waitcnt vmcnt(1)
	v_sub_co_u32 v1, vcc_lo, v11, s2
	v_subrev_co_ci_u32_e32 v2, vcc_lo, 0, v12, vcc_lo
	s_waitcnt vmcnt(0)
	v_cvt_f64_f32_e32 v[3:4], v3
	s_delay_alu instid0(VALU_DEP_2) | instskip(NEXT) | instid1(VALU_DEP_1)
	v_lshlrev_b64 v[1:2], 3, v[1:2]
	v_add_co_u32 v1, vcc_lo, s8, v1
	s_delay_alu instid0(VALU_DEP_2)
	v_add_co_ci_u32_e32 v2, vcc_lo, s9, v2, vcc_lo
	v_sub_co_u32 v9, vcc_lo, v9, s2
	v_subrev_co_ci_u32_e32 v10, vcc_lo, 0, v10, vcc_lo
	global_load_b64 v[1:2], v[1:2], off
	s_waitcnt vmcnt(0)
	v_mul_f64 v[7:8], v[1:2], v[3:4]
.LBB73_5:
	s_or_b32 exec_lo, exec_lo, s3
	v_lshlrev_b32_e32 v1, 3, v0
	s_mov_b32 s2, exec_lo
	s_delay_alu instid0(VALU_DEP_1)
	v_or_b32_e32 v2, 0x800, v1
	ds_store_2addr_stride64_b64 v1, v[9:10], v[7:8] offset1:4
	s_waitcnt lgkmcnt(0)
	s_barrier
	buffer_gl0_inv
	v_cmpx_ne_u32_e32 0, v0
	s_cbranch_execz .LBB73_9
; %bb.6:
	v_add_nc_u32_e32 v3, -8, v1
	s_mov_b32 s3, exec_lo
	ds_load_b64 v[3:4], v3
	s_waitcnt lgkmcnt(0)
	v_cmpx_eq_u64_e64 v[9:10], v[3:4]
	s_cbranch_execz .LBB73_8
; %bb.7:
	v_add_nc_u32_e32 v3, -8, v2
	ds_load_b64 v[3:4], v3
	s_waitcnt lgkmcnt(0)
	v_add_f64 v[7:8], v[7:8], v[3:4]
.LBB73_8:
	s_or_b32 exec_lo, exec_lo, s3
.LBB73_9:
	s_delay_alu instid0(SALU_CYCLE_1) | instskip(NEXT) | instid1(SALU_CYCLE_1)
	s_or_b32 exec_lo, exec_lo, s2
	s_mov_b32 s2, exec_lo
	s_barrier
	buffer_gl0_inv
	ds_store_b64 v2, v[7:8]
	s_waitcnt lgkmcnt(0)
	s_barrier
	buffer_gl0_inv
	v_cmpx_lt_u32_e32 1, v0
	s_cbranch_execz .LBB73_13
; %bb.10:
	v_add_nc_u32_e32 v3, -16, v1
	s_mov_b32 s3, exec_lo
	ds_load_b64 v[3:4], v3
	s_waitcnt lgkmcnt(0)
	v_cmpx_eq_u64_e64 v[9:10], v[3:4]
	s_cbranch_execz .LBB73_12
; %bb.11:
	v_add_nc_u32_e32 v3, -16, v2
	ds_load_b64 v[3:4], v3
	s_waitcnt lgkmcnt(0)
	v_add_f64 v[7:8], v[7:8], v[3:4]
.LBB73_12:
	s_or_b32 exec_lo, exec_lo, s3
.LBB73_13:
	s_delay_alu instid0(SALU_CYCLE_1) | instskip(NEXT) | instid1(SALU_CYCLE_1)
	s_or_b32 exec_lo, exec_lo, s2
	s_mov_b32 s2, exec_lo
	s_barrier
	buffer_gl0_inv
	ds_store_b64 v2, v[7:8]
	s_waitcnt lgkmcnt(0)
	s_barrier
	buffer_gl0_inv
	v_cmpx_lt_u32_e32 3, v0
	s_cbranch_execz .LBB73_17
; %bb.14:
	v_subrev_nc_u32_e32 v3, 32, v1
	s_mov_b32 s3, exec_lo
	ds_load_b64 v[3:4], v3
	s_waitcnt lgkmcnt(0)
	v_cmpx_eq_u64_e64 v[9:10], v[3:4]
	s_cbranch_execz .LBB73_16
; %bb.15:
	v_subrev_nc_u32_e32 v3, 32, v2
	ds_load_b64 v[3:4], v3
	s_waitcnt lgkmcnt(0)
	v_add_f64 v[7:8], v[7:8], v[3:4]
.LBB73_16:
	s_or_b32 exec_lo, exec_lo, s3
.LBB73_17:
	s_delay_alu instid0(SALU_CYCLE_1) | instskip(NEXT) | instid1(SALU_CYCLE_1)
	s_or_b32 exec_lo, exec_lo, s2
	s_mov_b32 s2, exec_lo
	s_barrier
	buffer_gl0_inv
	ds_store_b64 v2, v[7:8]
	s_waitcnt lgkmcnt(0)
	s_barrier
	buffer_gl0_inv
	v_cmpx_lt_u32_e32 7, v0
	s_cbranch_execz .LBB73_21
; %bb.18:
	v_subrev_nc_u32_e32 v3, 64, v1
	s_mov_b32 s3, exec_lo
	ds_load_b64 v[3:4], v3
	s_waitcnt lgkmcnt(0)
	v_cmpx_eq_u64_e64 v[9:10], v[3:4]
	s_cbranch_execz .LBB73_20
; %bb.19:
	v_subrev_nc_u32_e32 v3, 64, v2
	ds_load_b64 v[3:4], v3
	s_waitcnt lgkmcnt(0)
	v_add_f64 v[7:8], v[7:8], v[3:4]
.LBB73_20:
	s_or_b32 exec_lo, exec_lo, s3
.LBB73_21:
	s_delay_alu instid0(SALU_CYCLE_1) | instskip(NEXT) | instid1(SALU_CYCLE_1)
	s_or_b32 exec_lo, exec_lo, s2
	s_mov_b32 s2, exec_lo
	s_barrier
	buffer_gl0_inv
	ds_store_b64 v2, v[7:8]
	s_waitcnt lgkmcnt(0)
	s_barrier
	buffer_gl0_inv
	v_cmpx_lt_u32_e32 15, v0
	s_cbranch_execz .LBB73_25
; %bb.22:
	v_add_nc_u32_e32 v3, 0xffffff80, v1
	s_mov_b32 s3, exec_lo
	ds_load_b64 v[3:4], v3
	s_waitcnt lgkmcnt(0)
	v_cmpx_eq_u64_e64 v[9:10], v[3:4]
	s_cbranch_execz .LBB73_24
; %bb.23:
	v_add_nc_u32_e32 v3, 0xffffff80, v2
	ds_load_b64 v[3:4], v3
	s_waitcnt lgkmcnt(0)
	v_add_f64 v[7:8], v[7:8], v[3:4]
.LBB73_24:
	s_or_b32 exec_lo, exec_lo, s3
.LBB73_25:
	s_delay_alu instid0(SALU_CYCLE_1) | instskip(NEXT) | instid1(SALU_CYCLE_1)
	s_or_b32 exec_lo, exec_lo, s2
	s_mov_b32 s2, exec_lo
	s_barrier
	buffer_gl0_inv
	ds_store_b64 v2, v[7:8]
	s_waitcnt lgkmcnt(0)
	s_barrier
	buffer_gl0_inv
	v_cmpx_lt_u32_e32 31, v0
	s_cbranch_execz .LBB73_29
; %bb.26:
	v_add_nc_u32_e32 v3, 0xffffff00, v1
	s_mov_b32 s3, exec_lo
	ds_load_b64 v[3:4], v3
	s_waitcnt lgkmcnt(0)
	v_cmpx_eq_u64_e64 v[9:10], v[3:4]
	s_cbranch_execz .LBB73_28
; %bb.27:
	v_add_nc_u32_e32 v3, 0xffffff00, v2
	ds_load_b64 v[3:4], v3
	s_waitcnt lgkmcnt(0)
	v_add_f64 v[7:8], v[7:8], v[3:4]
.LBB73_28:
	s_or_b32 exec_lo, exec_lo, s3
.LBB73_29:
	s_delay_alu instid0(SALU_CYCLE_1) | instskip(NEXT) | instid1(SALU_CYCLE_1)
	s_or_b32 exec_lo, exec_lo, s2
	s_mov_b32 s2, exec_lo
	s_barrier
	buffer_gl0_inv
	ds_store_b64 v2, v[7:8]
	s_waitcnt lgkmcnt(0)
	s_barrier
	buffer_gl0_inv
	v_cmpx_lt_u32_e32 63, v0
	s_cbranch_execz .LBB73_33
; %bb.30:
	v_add_nc_u32_e32 v3, 0xfffffe00, v1
	s_mov_b32 s3, exec_lo
	ds_load_b64 v[3:4], v3
	s_waitcnt lgkmcnt(0)
	v_cmpx_eq_u64_e64 v[9:10], v[3:4]
	s_cbranch_execz .LBB73_32
; %bb.31:
	v_add_nc_u32_e32 v3, 0xfffffe00, v2
	ds_load_b64 v[3:4], v3
	s_waitcnt lgkmcnt(0)
	v_add_f64 v[7:8], v[7:8], v[3:4]
.LBB73_32:
	s_or_b32 exec_lo, exec_lo, s3
.LBB73_33:
	s_delay_alu instid0(SALU_CYCLE_1)
	s_or_b32 exec_lo, exec_lo, s2
	s_load_b64 s[2:3], s[0:1], 0x28
	s_mov_b32 s0, exec_lo
	s_waitcnt lgkmcnt(0)
	s_barrier
	buffer_gl0_inv
	ds_store_b64 v2, v[7:8]
	s_waitcnt lgkmcnt(0)
	s_barrier
	buffer_gl0_inv
	v_cmpx_lt_u32_e32 0x7f, v0
	s_cbranch_execz .LBB73_37
; %bb.34:
	v_add_nc_u32_e32 v3, 0xfffffc00, v1
	s_mov_b32 s1, exec_lo
	ds_load_b64 v[3:4], v3
	s_waitcnt lgkmcnt(0)
	v_cmpx_eq_u64_e64 v[9:10], v[3:4]
	s_cbranch_execz .LBB73_36
; %bb.35:
	v_add_nc_u32_e32 v3, 0xfffffc00, v2
	ds_load_b64 v[3:4], v3
	s_waitcnt lgkmcnt(0)
	v_add_f64 v[7:8], v[7:8], v[3:4]
.LBB73_36:
	s_or_b32 exec_lo, exec_lo, s1
.LBB73_37:
	s_delay_alu instid0(SALU_CYCLE_1) | instskip(NEXT) | instid1(SALU_CYCLE_1)
	s_or_b32 exec_lo, exec_lo, s0
	s_mov_b32 s1, exec_lo
	s_barrier
	buffer_gl0_inv
	ds_store_b64 v2, v[7:8]
	s_waitcnt lgkmcnt(0)
	s_barrier
	buffer_gl0_inv
	v_cmpx_gt_u32_e32 0xff, v0
	s_cbranch_execz .LBB73_41
; %bb.38:
	ds_load_b64 v[1:2], v1 offset:8
	v_cmp_lt_i64_e64 s0, -1, v[9:10]
	s_waitcnt lgkmcnt(0)
	v_cmp_ne_u64_e32 vcc_lo, v[9:10], v[1:2]
	s_delay_alu instid0(VALU_DEP_2) | instskip(NEXT) | instid1(SALU_CYCLE_1)
	s_and_b32 s0, s0, vcc_lo
	s_and_b32 exec_lo, exec_lo, s0
	s_cbranch_execz .LBB73_41
; %bb.39:
	v_lshlrev_b64 v[1:2], 3, v[9:10]
	v_mul_f64 v[13:14], v[5:6], v[7:8]
	s_mov_b32 s0, 0
	s_delay_alu instid0(VALU_DEP_2) | instskip(NEXT) | instid1(VALU_DEP_3)
	v_add_co_u32 v11, vcc_lo, s2, v1
	v_add_co_ci_u32_e32 v12, vcc_lo, s3, v2, vcc_lo
	global_load_b64 v[3:4], v[11:12], off
.LBB73_40:                              ; =>This Inner Loop Header: Depth=1
	s_waitcnt vmcnt(0)
	v_add_f64 v[1:2], v[3:4], v[13:14]
	global_atomic_cmpswap_b64 v[1:2], v[11:12], v[1:4], off glc
	s_waitcnt vmcnt(0)
	v_cmp_eq_u64_e32 vcc_lo, v[1:2], v[3:4]
	v_dual_mov_b32 v4, v2 :: v_dual_mov_b32 v3, v1
	s_or_b32 s0, vcc_lo, s0
	s_delay_alu instid0(SALU_CYCLE_1)
	s_and_not1_b32 exec_lo, exec_lo, s0
	s_cbranch_execnz .LBB73_40
.LBB73_41:
	s_or_b32 exec_lo, exec_lo, s1
	v_cmp_lt_i64_e32 vcc_lo, -1, v[9:10]
	v_cmp_eq_u32_e64 s0, 0xff, v0
	s_delay_alu instid0(VALU_DEP_1) | instskip(NEXT) | instid1(SALU_CYCLE_1)
	s_and_b32 s0, s0, vcc_lo
	s_and_b32 exec_lo, exec_lo, s0
	s_cbranch_execz .LBB73_44
; %bb.42:
	v_lshlrev_b64 v[0:1], 3, v[9:10]
	v_mul_f64 v[4:5], v[5:6], v[7:8]
	s_mov_b32 s0, 0
	s_delay_alu instid0(VALU_DEP_2) | instskip(NEXT) | instid1(VALU_DEP_3)
	v_add_co_u32 v9, vcc_lo, s2, v0
	v_add_co_ci_u32_e32 v10, vcc_lo, s3, v1, vcc_lo
	global_load_b64 v[2:3], v[9:10], off
.LBB73_43:                              ; =>This Inner Loop Header: Depth=1
	s_waitcnt vmcnt(0)
	v_add_f64 v[0:1], v[2:3], v[4:5]
	global_atomic_cmpswap_b64 v[0:1], v[9:10], v[0:3], off glc
	s_waitcnt vmcnt(0)
	v_cmp_eq_u64_e32 vcc_lo, v[0:1], v[2:3]
	v_dual_mov_b32 v3, v1 :: v_dual_mov_b32 v2, v0
	s_or_b32 s0, vcc_lo, s0
	s_delay_alu instid0(SALU_CYCLE_1)
	s_and_not1_b32 exec_lo, exec_lo, s0
	s_cbranch_execnz .LBB73_43
.LBB73_44:
	s_endpgm
	.section	.rodata,"a",@progbits
	.p2align	6, 0x0
	.amdhsa_kernel _ZN9rocsparseL23coomvn_aos_atomic_loopsILj256ELj1ElfdddEEvlNS_24const_host_device_scalarIT5_EEPKT1_PKT2_PKT3_PT4_21rocsparse_index_base_b
		.amdhsa_group_segment_fixed_size 4096
		.amdhsa_private_segment_fixed_size 0
		.amdhsa_kernarg_size 56
		.amdhsa_user_sgpr_count 15
		.amdhsa_user_sgpr_dispatch_ptr 0
		.amdhsa_user_sgpr_queue_ptr 0
		.amdhsa_user_sgpr_kernarg_segment_ptr 1
		.amdhsa_user_sgpr_dispatch_id 0
		.amdhsa_user_sgpr_private_segment_size 0
		.amdhsa_wavefront_size32 1
		.amdhsa_uses_dynamic_stack 0
		.amdhsa_enable_private_segment 0
		.amdhsa_system_sgpr_workgroup_id_x 1
		.amdhsa_system_sgpr_workgroup_id_y 0
		.amdhsa_system_sgpr_workgroup_id_z 0
		.amdhsa_system_sgpr_workgroup_info 0
		.amdhsa_system_vgpr_workitem_id 0
		.amdhsa_next_free_vgpr 15
		.amdhsa_next_free_sgpr 16
		.amdhsa_reserve_vcc 1
		.amdhsa_float_round_mode_32 0
		.amdhsa_float_round_mode_16_64 0
		.amdhsa_float_denorm_mode_32 3
		.amdhsa_float_denorm_mode_16_64 3
		.amdhsa_dx10_clamp 1
		.amdhsa_ieee_mode 1
		.amdhsa_fp16_overflow 0
		.amdhsa_workgroup_processor_mode 1
		.amdhsa_memory_ordered 1
		.amdhsa_forward_progress 0
		.amdhsa_shared_vgpr_count 0
		.amdhsa_exception_fp_ieee_invalid_op 0
		.amdhsa_exception_fp_denorm_src 0
		.amdhsa_exception_fp_ieee_div_zero 0
		.amdhsa_exception_fp_ieee_overflow 0
		.amdhsa_exception_fp_ieee_underflow 0
		.amdhsa_exception_fp_ieee_inexact 0
		.amdhsa_exception_int_div_zero 0
	.end_amdhsa_kernel
	.section	.text._ZN9rocsparseL23coomvn_aos_atomic_loopsILj256ELj1ElfdddEEvlNS_24const_host_device_scalarIT5_EEPKT1_PKT2_PKT3_PT4_21rocsparse_index_base_b,"axG",@progbits,_ZN9rocsparseL23coomvn_aos_atomic_loopsILj256ELj1ElfdddEEvlNS_24const_host_device_scalarIT5_EEPKT1_PKT2_PKT3_PT4_21rocsparse_index_base_b,comdat
.Lfunc_end73:
	.size	_ZN9rocsparseL23coomvn_aos_atomic_loopsILj256ELj1ElfdddEEvlNS_24const_host_device_scalarIT5_EEPKT1_PKT2_PKT3_PT4_21rocsparse_index_base_b, .Lfunc_end73-_ZN9rocsparseL23coomvn_aos_atomic_loopsILj256ELj1ElfdddEEvlNS_24const_host_device_scalarIT5_EEPKT1_PKT2_PKT3_PT4_21rocsparse_index_base_b
                                        ; -- End function
	.section	.AMDGPU.csdata,"",@progbits
; Kernel info:
; codeLenInByte = 1612
; NumSgprs: 18
; NumVgprs: 15
; ScratchSize: 0
; MemoryBound: 0
; FloatMode: 240
; IeeeMode: 1
; LDSByteSize: 4096 bytes/workgroup (compile time only)
; SGPRBlocks: 2
; VGPRBlocks: 1
; NumSGPRsForWavesPerEU: 18
; NumVGPRsForWavesPerEU: 15
; Occupancy: 16
; WaveLimiterHint : 1
; COMPUTE_PGM_RSRC2:SCRATCH_EN: 0
; COMPUTE_PGM_RSRC2:USER_SGPR: 15
; COMPUTE_PGM_RSRC2:TRAP_HANDLER: 0
; COMPUTE_PGM_RSRC2:TGID_X_EN: 1
; COMPUTE_PGM_RSRC2:TGID_Y_EN: 0
; COMPUTE_PGM_RSRC2:TGID_Z_EN: 0
; COMPUTE_PGM_RSRC2:TIDIG_COMP_CNT: 0
	.section	.text._ZN9rocsparseL17coomvt_aos_kernelILj1024ElfdddEEv20rocsparse_operation_lNS_24const_host_device_scalarIT4_EEPKT0_PKT1_PKT2_PT3_21rocsparse_index_base_b,"axG",@progbits,_ZN9rocsparseL17coomvt_aos_kernelILj1024ElfdddEEv20rocsparse_operation_lNS_24const_host_device_scalarIT4_EEPKT0_PKT1_PKT2_PT3_21rocsparse_index_base_b,comdat
	.globl	_ZN9rocsparseL17coomvt_aos_kernelILj1024ElfdddEEv20rocsparse_operation_lNS_24const_host_device_scalarIT4_EEPKT0_PKT1_PKT2_PT3_21rocsparse_index_base_b ; -- Begin function _ZN9rocsparseL17coomvt_aos_kernelILj1024ElfdddEEv20rocsparse_operation_lNS_24const_host_device_scalarIT4_EEPKT0_PKT1_PKT2_PT3_21rocsparse_index_base_b
	.p2align	8
	.type	_ZN9rocsparseL17coomvt_aos_kernelILj1024ElfdddEEv20rocsparse_operation_lNS_24const_host_device_scalarIT4_EEPKT0_PKT1_PKT2_PT3_21rocsparse_index_base_b,@function
_ZN9rocsparseL17coomvt_aos_kernelILj1024ElfdddEEv20rocsparse_operation_lNS_24const_host_device_scalarIT4_EEPKT0_PKT1_PKT2_PT3_21rocsparse_index_base_b: ; @_ZN9rocsparseL17coomvt_aos_kernelILj1024ElfdddEEv20rocsparse_operation_lNS_24const_host_device_scalarIT4_EEPKT0_PKT1_PKT2_PT3_21rocsparse_index_base_b
; %bb.0:
	s_clause 0x1
	s_load_b64 s[8:9], s[0:1], 0x38
	s_load_b128 s[4:7], s[0:1], 0x8
	s_waitcnt lgkmcnt(0)
	s_bitcmp1_b32 s9, 0
	v_dual_mov_b32 v4, s6 :: v_dual_mov_b32 v5, s7
	s_cselect_b32 s2, -1, 0
	s_delay_alu instid0(SALU_CYCLE_1)
	s_and_b32 vcc_lo, exec_lo, s2
	s_cbranch_vccnz .LBB74_2
; %bb.1:
	v_dual_mov_b32 v1, s6 :: v_dual_mov_b32 v2, s7
	flat_load_b64 v[4:5], v[1:2]
.LBB74_2:
	s_mov_b32 s2, exec_lo
	s_waitcnt vmcnt(0) lgkmcnt(0)
	v_cmpx_neq_f64_e32 0, v[4:5]
	s_cbranch_execz .LBB74_6
; %bb.3:
	s_load_b32 s2, s[0:1], 0x4c
	s_waitcnt lgkmcnt(0)
	s_and_b32 s2, s2, 0xffff
	s_delay_alu instid0(SALU_CYCLE_1) | instskip(SKIP_1) | instid1(VALU_DEP_1)
	v_mad_u64_u32 v[1:2], null, s15, s2, v[0:1]
	v_mov_b32_e32 v2, 0
	v_cmp_gt_i64_e32 vcc_lo, s[4:5], v[1:2]
	s_and_b32 exec_lo, exec_lo, vcc_lo
	s_cbranch_execz .LBB74_6
; %bb.4:
	s_load_b256 s[0:7], s[0:1], 0x18
	v_lshlrev_b64 v[6:7], 4, v[1:2]
	v_lshlrev_b64 v[0:1], 2, v[1:2]
	s_waitcnt lgkmcnt(0)
	s_delay_alu instid0(VALU_DEP_2) | instskip(NEXT) | instid1(VALU_DEP_3)
	v_add_co_u32 v6, vcc_lo, s0, v6
	v_add_co_ci_u32_e32 v7, vcc_lo, s1, v7, vcc_lo
	s_delay_alu instid0(VALU_DEP_3) | instskip(NEXT) | instid1(VALU_DEP_4)
	v_add_co_u32 v0, vcc_lo, s2, v0
	v_add_co_ci_u32_e32 v1, vcc_lo, s3, v1, vcc_lo
	global_load_b128 v[6:9], v[6:7], off
	s_mov_b32 s0, 0
	global_load_b32 v10, v[0:1], off
	s_waitcnt vmcnt(1)
	v_sub_co_u32 v0, vcc_lo, v6, s8
	v_subrev_co_ci_u32_e32 v1, vcc_lo, 0, v7, vcc_lo
	s_delay_alu instid0(VALU_DEP_1) | instskip(NEXT) | instid1(VALU_DEP_1)
	v_lshlrev_b64 v[0:1], 3, v[0:1]
	v_add_co_u32 v0, vcc_lo, s4, v0
	s_delay_alu instid0(VALU_DEP_2)
	v_add_co_ci_u32_e32 v1, vcc_lo, s5, v1, vcc_lo
	v_sub_co_u32 v2, vcc_lo, v8, s8
	v_subrev_co_ci_u32_e32 v3, vcc_lo, 0, v9, vcc_lo
	global_load_b64 v[0:1], v[0:1], off
	s_waitcnt vmcnt(1)
	v_cvt_f64_f32_e32 v[8:9], v10
	v_lshlrev_b64 v[2:3], 3, v[2:3]
	s_delay_alu instid0(VALU_DEP_1) | instskip(NEXT) | instid1(VALU_DEP_2)
	v_add_co_u32 v6, vcc_lo, s6, v2
	v_add_co_ci_u32_e32 v7, vcc_lo, s7, v3, vcc_lo
	global_load_b64 v[2:3], v[6:7], off
	v_mul_f64 v[4:5], v[4:5], v[8:9]
	s_waitcnt vmcnt(1)
	s_delay_alu instid0(VALU_DEP_1)
	v_mul_f64 v[4:5], v[0:1], v[4:5]
.LBB74_5:                               ; =>This Inner Loop Header: Depth=1
	s_waitcnt vmcnt(0)
	s_delay_alu instid0(VALU_DEP_1)
	v_add_f64 v[0:1], v[2:3], v[4:5]
	global_atomic_cmpswap_b64 v[0:1], v[6:7], v[0:3], off glc
	s_waitcnt vmcnt(0)
	v_cmp_eq_u64_e32 vcc_lo, v[0:1], v[2:3]
	v_dual_mov_b32 v3, v1 :: v_dual_mov_b32 v2, v0
	s_or_b32 s0, vcc_lo, s0
	s_delay_alu instid0(SALU_CYCLE_1)
	s_and_not1_b32 exec_lo, exec_lo, s0
	s_cbranch_execnz .LBB74_5
.LBB74_6:
	s_endpgm
	.section	.rodata,"a",@progbits
	.p2align	6, 0x0
	.amdhsa_kernel _ZN9rocsparseL17coomvt_aos_kernelILj1024ElfdddEEv20rocsparse_operation_lNS_24const_host_device_scalarIT4_EEPKT0_PKT1_PKT2_PT3_21rocsparse_index_base_b
		.amdhsa_group_segment_fixed_size 0
		.amdhsa_private_segment_fixed_size 0
		.amdhsa_kernarg_size 320
		.amdhsa_user_sgpr_count 15
		.amdhsa_user_sgpr_dispatch_ptr 0
		.amdhsa_user_sgpr_queue_ptr 0
		.amdhsa_user_sgpr_kernarg_segment_ptr 1
		.amdhsa_user_sgpr_dispatch_id 0
		.amdhsa_user_sgpr_private_segment_size 0
		.amdhsa_wavefront_size32 1
		.amdhsa_uses_dynamic_stack 0
		.amdhsa_enable_private_segment 0
		.amdhsa_system_sgpr_workgroup_id_x 1
		.amdhsa_system_sgpr_workgroup_id_y 0
		.amdhsa_system_sgpr_workgroup_id_z 0
		.amdhsa_system_sgpr_workgroup_info 0
		.amdhsa_system_vgpr_workitem_id 0
		.amdhsa_next_free_vgpr 11
		.amdhsa_next_free_sgpr 16
		.amdhsa_reserve_vcc 1
		.amdhsa_float_round_mode_32 0
		.amdhsa_float_round_mode_16_64 0
		.amdhsa_float_denorm_mode_32 3
		.amdhsa_float_denorm_mode_16_64 3
		.amdhsa_dx10_clamp 1
		.amdhsa_ieee_mode 1
		.amdhsa_fp16_overflow 0
		.amdhsa_workgroup_processor_mode 1
		.amdhsa_memory_ordered 1
		.amdhsa_forward_progress 0
		.amdhsa_shared_vgpr_count 0
		.amdhsa_exception_fp_ieee_invalid_op 0
		.amdhsa_exception_fp_denorm_src 0
		.amdhsa_exception_fp_ieee_div_zero 0
		.amdhsa_exception_fp_ieee_overflow 0
		.amdhsa_exception_fp_ieee_underflow 0
		.amdhsa_exception_fp_ieee_inexact 0
		.amdhsa_exception_int_div_zero 0
	.end_amdhsa_kernel
	.section	.text._ZN9rocsparseL17coomvt_aos_kernelILj1024ElfdddEEv20rocsparse_operation_lNS_24const_host_device_scalarIT4_EEPKT0_PKT1_PKT2_PT3_21rocsparse_index_base_b,"axG",@progbits,_ZN9rocsparseL17coomvt_aos_kernelILj1024ElfdddEEv20rocsparse_operation_lNS_24const_host_device_scalarIT4_EEPKT0_PKT1_PKT2_PT3_21rocsparse_index_base_b,comdat
.Lfunc_end74:
	.size	_ZN9rocsparseL17coomvt_aos_kernelILj1024ElfdddEEv20rocsparse_operation_lNS_24const_host_device_scalarIT4_EEPKT0_PKT1_PKT2_PT3_21rocsparse_index_base_b, .Lfunc_end74-_ZN9rocsparseL17coomvt_aos_kernelILj1024ElfdddEEv20rocsparse_operation_lNS_24const_host_device_scalarIT4_EEPKT0_PKT1_PKT2_PT3_21rocsparse_index_base_b
                                        ; -- End function
	.section	.AMDGPU.csdata,"",@progbits
; Kernel info:
; codeLenInByte = 400
; NumSgprs: 18
; NumVgprs: 11
; ScratchSize: 0
; MemoryBound: 0
; FloatMode: 240
; IeeeMode: 1
; LDSByteSize: 0 bytes/workgroup (compile time only)
; SGPRBlocks: 2
; VGPRBlocks: 1
; NumSGPRsForWavesPerEU: 18
; NumVGPRsForWavesPerEU: 11
; Occupancy: 16
; WaveLimiterHint : 1
; COMPUTE_PGM_RSRC2:SCRATCH_EN: 0
; COMPUTE_PGM_RSRC2:USER_SGPR: 15
; COMPUTE_PGM_RSRC2:TRAP_HANDLER: 0
; COMPUTE_PGM_RSRC2:TGID_X_EN: 1
; COMPUTE_PGM_RSRC2:TGID_Y_EN: 0
; COMPUTE_PGM_RSRC2:TGID_Z_EN: 0
; COMPUTE_PGM_RSRC2:TIDIG_COMP_CNT: 0
	.section	.text._ZN9rocsparseL26coomvn_aos_segmented_loopsILj256ElfdddEEvlT0_NS_24const_host_device_scalarIT4_EEPKS1_PKT1_PKT2_PT3_PS1_PS3_21rocsparse_index_base_b,"axG",@progbits,_ZN9rocsparseL26coomvn_aos_segmented_loopsILj256ElfdddEEvlT0_NS_24const_host_device_scalarIT4_EEPKS1_PKT1_PKT2_PT3_PS1_PS3_21rocsparse_index_base_b,comdat
	.globl	_ZN9rocsparseL26coomvn_aos_segmented_loopsILj256ElfdddEEvlT0_NS_24const_host_device_scalarIT4_EEPKS1_PKT1_PKT2_PT3_PS1_PS3_21rocsparse_index_base_b ; -- Begin function _ZN9rocsparseL26coomvn_aos_segmented_loopsILj256ElfdddEEvlT0_NS_24const_host_device_scalarIT4_EEPKS1_PKT1_PKT2_PT3_PS1_PS3_21rocsparse_index_base_b
	.p2align	8
	.type	_ZN9rocsparseL26coomvn_aos_segmented_loopsILj256ElfdddEEvlT0_NS_24const_host_device_scalarIT4_EEPKS1_PKT1_PKT2_PT3_PS1_PS3_21rocsparse_index_base_b,@function
_ZN9rocsparseL26coomvn_aos_segmented_loopsILj256ElfdddEEvlT0_NS_24const_host_device_scalarIT4_EEPKS1_PKT1_PKT2_PT3_PS1_PS3_21rocsparse_index_base_b: ; @_ZN9rocsparseL26coomvn_aos_segmented_loopsILj256ElfdddEEvlT0_NS_24const_host_device_scalarIT4_EEPKS1_PKT1_PKT2_PT3_PS1_PS3_21rocsparse_index_base_b
; %bb.0:
	s_clause 0x1
	s_load_b64 s[26:27], s[0:1], 0x48
	s_load_b64 s[2:3], s[0:1], 0x10
	s_mov_b32 s24, s15
	s_waitcnt lgkmcnt(0)
	s_bitcmp1_b32 s27, 0
	v_dual_mov_b32 v1, s2 :: v_dual_mov_b32 v2, s3
	s_cselect_b32 s4, -1, 0
	s_delay_alu instid0(SALU_CYCLE_1)
	s_and_b32 vcc_lo, exec_lo, s4
	s_cbranch_vccnz .LBB75_2
; %bb.1:
	v_dual_mov_b32 v1, s2 :: v_dual_mov_b32 v2, s3
	flat_load_b64 v[1:2], v[1:2]
.LBB75_2:
	s_mov_b32 s2, exec_lo
	s_waitcnt vmcnt(0) lgkmcnt(0)
	v_cmpx_neq_f64_e32 0, v[1:2]
	s_cbranch_execz .LBB75_89
; %bb.3:
	s_clause 0x2
	s_load_b128 s[16:19], s[0:1], 0x0
	s_load_b128 s[20:23], s[0:1], 0x18
	s_load_b64 s[34:35], s[0:1], 0x28
	s_mov_b32 s25, 0
	v_mov_b32_e32 v3, -1
	v_dual_mov_b32 v4, -1 :: v_dual_mov_b32 v5, 0
	v_mov_b32_e32 v6, 0
	s_waitcnt lgkmcnt(0)
	s_mul_i32 s3, s24, s19
	s_mul_hi_u32 s4, s24, s18
	s_mul_i32 s2, s24, s18
	s_add_i32 s3, s4, s3
	s_delay_alu instid0(SALU_CYCLE_1) | instskip(NEXT) | instid1(SALU_CYCLE_1)
	s_lshl_b64 s[2:3], s[2:3], 8
	v_mov_b32_e32 v8, s3
	v_or_b32_e32 v7, s2, v0
	s_mov_b32 s2, exec_lo
	s_delay_alu instid0(VALU_DEP_1)
	v_cmpx_gt_i64_e64 s[16:17], v[7:8]
	s_cbranch_execz .LBB75_5
; %bb.4:
	v_lshlrev_b64 v[3:4], 4, v[7:8]
	v_lshlrev_b64 v[9:10], 2, v[7:8]
	s_ashr_i32 s27, s26, 31
	s_delay_alu instid0(SALU_CYCLE_1) | instskip(NEXT) | instid1(VALU_DEP_2)
	s_lshl_b64 s[4:5], s[26:27], 3
	v_add_co_u32 v3, vcc_lo, s20, v3
	s_delay_alu instid0(VALU_DEP_3) | instskip(NEXT) | instid1(VALU_DEP_3)
	v_add_co_ci_u32_e32 v4, vcc_lo, s21, v4, vcc_lo
	v_add_co_u32 v9, vcc_lo, s22, v9
	v_add_co_ci_u32_e32 v10, vcc_lo, s23, v10, vcc_lo
	global_load_b128 v[3:6], v[3:4], off slc dlc
	global_load_b32 v9, v[9:10], off slc dlc
	s_waitcnt vmcnt(1)
	v_lshlrev_b64 v[5:6], 3, v[5:6]
	s_waitcnt vmcnt(0)
	v_cvt_f64_f32_e32 v[9:10], v9
	s_delay_alu instid0(VALU_DEP_2) | instskip(NEXT) | instid1(VALU_DEP_3)
	v_add_co_u32 v5, vcc_lo, s34, v5
	v_add_co_ci_u32_e32 v6, vcc_lo, s35, v6, vcc_lo
	s_delay_alu instid0(VALU_DEP_2) | instskip(NEXT) | instid1(VALU_DEP_2)
	v_sub_co_u32 v5, vcc_lo, v5, s4
	v_subrev_co_ci_u32_e32 v6, vcc_lo, s5, v6, vcc_lo
	v_sub_co_u32 v3, vcc_lo, v3, s26
	v_subrev_co_ci_u32_e32 v4, vcc_lo, 0, v4, vcc_lo
	global_load_b64 v[5:6], v[5:6], off
	s_waitcnt vmcnt(0)
	v_mul_f64 v[5:6], v[5:6], v[9:10]
.LBB75_5:
	s_or_b32 exec_lo, exec_lo, s2
	v_lshlrev_b32_e32 v15, 3, v0
	v_cmp_eq_u32_e64 s2, 0, v0
	v_cmp_ne_u32_e64 s3, 0, v0
	s_delay_alu instid0(VALU_DEP_3)
	v_or_b32_e32 v16, 0x800, v15
	v_add_nc_u32_e32 v17, -8, v15
	ds_store_2addr_stride64_b64 v15, v[3:4], v[5:6] offset1:4
	s_waitcnt lgkmcnt(0)
	s_barrier
	buffer_gl0_inv
	s_and_saveexec_b32 s4, s3
	s_cbranch_execz .LBB75_9
; %bb.6:
	ds_load_b64 v[9:10], v17
	s_mov_b32 s5, exec_lo
	s_waitcnt lgkmcnt(0)
	v_cmpx_eq_u64_e64 v[3:4], v[9:10]
	s_cbranch_execz .LBB75_8
; %bb.7:
	v_add_nc_u32_e32 v9, -8, v16
	ds_load_b64 v[9:10], v9
	s_waitcnt lgkmcnt(0)
	v_add_f64 v[5:6], v[5:6], v[9:10]
.LBB75_8:
	s_or_b32 exec_lo, exec_lo, s5
.LBB75_9:
	s_delay_alu instid0(SALU_CYCLE_1)
	s_or_b32 exec_lo, exec_lo, s4
	v_cmp_lt_u32_e64 s4, 1, v0
	v_add_nc_u32_e32 v18, -16, v15
	s_barrier
	buffer_gl0_inv
	ds_store_b64 v16, v[5:6]
	s_waitcnt lgkmcnt(0)
	s_barrier
	buffer_gl0_inv
	s_and_saveexec_b32 s5, s4
	s_cbranch_execz .LBB75_13
; %bb.10:
	ds_load_b64 v[9:10], v18
	s_mov_b32 s6, exec_lo
	s_waitcnt lgkmcnt(0)
	v_cmpx_eq_u64_e64 v[3:4], v[9:10]
	s_cbranch_execz .LBB75_12
; %bb.11:
	v_add_nc_u32_e32 v9, -16, v16
	ds_load_b64 v[9:10], v9
	s_waitcnt lgkmcnt(0)
	v_add_f64 v[5:6], v[5:6], v[9:10]
.LBB75_12:
	s_or_b32 exec_lo, exec_lo, s6
.LBB75_13:
	s_delay_alu instid0(SALU_CYCLE_1)
	s_or_b32 exec_lo, exec_lo, s5
	v_cmp_lt_u32_e64 s5, 3, v0
	v_subrev_nc_u32_e32 v19, 32, v15
	s_barrier
	buffer_gl0_inv
	ds_store_b64 v16, v[5:6]
	s_waitcnt lgkmcnt(0)
	s_barrier
	buffer_gl0_inv
	s_and_saveexec_b32 s6, s5
	s_cbranch_execz .LBB75_17
; %bb.14:
	ds_load_b64 v[9:10], v19
	s_mov_b32 s7, exec_lo
	s_waitcnt lgkmcnt(0)
	v_cmpx_eq_u64_e64 v[3:4], v[9:10]
	s_cbranch_execz .LBB75_16
; %bb.15:
	v_subrev_nc_u32_e32 v9, 32, v16
	ds_load_b64 v[9:10], v9
	s_waitcnt lgkmcnt(0)
	v_add_f64 v[5:6], v[5:6], v[9:10]
.LBB75_16:
	s_or_b32 exec_lo, exec_lo, s7
.LBB75_17:
	s_delay_alu instid0(SALU_CYCLE_1)
	s_or_b32 exec_lo, exec_lo, s6
	v_cmp_lt_u32_e64 s6, 7, v0
	v_subrev_nc_u32_e32 v20, 64, v15
	s_barrier
	buffer_gl0_inv
	ds_store_b64 v16, v[5:6]
	s_waitcnt lgkmcnt(0)
	s_barrier
	buffer_gl0_inv
	s_and_saveexec_b32 s7, s6
	s_cbranch_execz .LBB75_21
; %bb.18:
	ds_load_b64 v[9:10], v20
	s_mov_b32 s8, exec_lo
	s_waitcnt lgkmcnt(0)
	v_cmpx_eq_u64_e64 v[3:4], v[9:10]
	s_cbranch_execz .LBB75_20
; %bb.19:
	v_subrev_nc_u32_e32 v9, 64, v16
	ds_load_b64 v[9:10], v9
	s_waitcnt lgkmcnt(0)
	v_add_f64 v[5:6], v[5:6], v[9:10]
.LBB75_20:
	s_or_b32 exec_lo, exec_lo, s8
.LBB75_21:
	s_delay_alu instid0(SALU_CYCLE_1)
	s_or_b32 exec_lo, exec_lo, s7
	v_cmp_lt_u32_e64 s7, 15, v0
	v_add_nc_u32_e32 v21, 0xffffff80, v15
	s_barrier
	buffer_gl0_inv
	ds_store_b64 v16, v[5:6]
	s_waitcnt lgkmcnt(0)
	s_barrier
	buffer_gl0_inv
	s_and_saveexec_b32 s8, s7
	s_cbranch_execz .LBB75_25
; %bb.22:
	ds_load_b64 v[9:10], v21
	s_mov_b32 s9, exec_lo
	s_waitcnt lgkmcnt(0)
	v_cmpx_eq_u64_e64 v[3:4], v[9:10]
	s_cbranch_execz .LBB75_24
; %bb.23:
	v_add_nc_u32_e32 v9, 0xffffff80, v16
	ds_load_b64 v[9:10], v9
	s_waitcnt lgkmcnt(0)
	v_add_f64 v[5:6], v[5:6], v[9:10]
.LBB75_24:
	s_or_b32 exec_lo, exec_lo, s9
.LBB75_25:
	s_delay_alu instid0(SALU_CYCLE_1)
	s_or_b32 exec_lo, exec_lo, s8
	v_cmp_lt_u32_e64 s8, 31, v0
	v_add_nc_u32_e32 v22, 0xffffff00, v15
	s_barrier
	buffer_gl0_inv
	ds_store_b64 v16, v[5:6]
	s_waitcnt lgkmcnt(0)
	s_barrier
	buffer_gl0_inv
	s_and_saveexec_b32 s9, s8
	s_cbranch_execz .LBB75_29
; %bb.26:
	ds_load_b64 v[9:10], v22
	s_mov_b32 s10, exec_lo
	s_waitcnt lgkmcnt(0)
	v_cmpx_eq_u64_e64 v[3:4], v[9:10]
	s_cbranch_execz .LBB75_28
; %bb.27:
	v_add_nc_u32_e32 v9, 0xffffff00, v16
	ds_load_b64 v[9:10], v9
	s_waitcnt lgkmcnt(0)
	v_add_f64 v[5:6], v[5:6], v[9:10]
.LBB75_28:
	s_or_b32 exec_lo, exec_lo, s10
.LBB75_29:
	;; [unrolled: 26-line block ×3, first 2 shown]
	s_delay_alu instid0(SALU_CYCLE_1)
	s_or_b32 exec_lo, exec_lo, s10
	s_load_b64 s[28:29], s[0:1], 0x30
	v_cmp_lt_u32_e64 s10, 0x7f, v0
	v_add_nc_u32_e32 v24, 0xfffffc00, v15
	s_waitcnt lgkmcnt(0)
	s_barrier
	buffer_gl0_inv
	ds_store_b64 v16, v[5:6]
	s_waitcnt lgkmcnt(0)
	s_barrier
	buffer_gl0_inv
	s_and_saveexec_b32 s11, s10
	s_cbranch_execz .LBB75_37
; %bb.34:
	ds_load_b64 v[9:10], v24
	s_mov_b32 s12, exec_lo
	s_waitcnt lgkmcnt(0)
	v_cmpx_eq_u64_e64 v[3:4], v[9:10]
	s_cbranch_execz .LBB75_36
; %bb.35:
	v_add_nc_u32_e32 v9, 0xfffffc00, v16
	ds_load_b64 v[9:10], v9
	s_waitcnt lgkmcnt(0)
	v_add_f64 v[5:6], v[5:6], v[9:10]
.LBB75_36:
	s_or_b32 exec_lo, exec_lo, s12
.LBB75_37:
	s_delay_alu instid0(SALU_CYCLE_1)
	s_or_b32 exec_lo, exec_lo, s11
	v_cmp_gt_u32_e64 s11, 0xff, v0
	s_barrier
	buffer_gl0_inv
	ds_store_b64 v16, v[5:6]
	s_waitcnt lgkmcnt(0)
	s_barrier
	buffer_gl0_inv
	s_and_saveexec_b32 s13, s11
	s_cbranch_execz .LBB75_40
; %bb.38:
	ds_load_b64 v[9:10], v15 offset:8
	v_cmp_lt_i64_e64 s12, -1, v[3:4]
	s_waitcnt lgkmcnt(0)
	v_cmp_ne_u64_e32 vcc_lo, v[3:4], v[9:10]
	s_delay_alu instid0(VALU_DEP_2) | instskip(NEXT) | instid1(SALU_CYCLE_1)
	s_and_b32 s12, s12, vcc_lo
	s_and_b32 exec_lo, exec_lo, s12
	s_cbranch_execz .LBB75_40
; %bb.39:
	v_lshlrev_b64 v[9:10], 3, v[3:4]
	s_delay_alu instid0(VALU_DEP_1) | instskip(NEXT) | instid1(VALU_DEP_2)
	v_add_co_u32 v9, vcc_lo, s28, v9
	v_add_co_ci_u32_e32 v10, vcc_lo, s29, v10, vcc_lo
	global_load_b64 v[11:12], v[9:10], off
	s_waitcnt vmcnt(0)
	v_fma_f64 v[11:12], v[1:2], v[5:6], v[11:12]
	global_store_b64 v[9:10], v[11:12], off
.LBB75_40:
	s_or_b32 exec_lo, exec_lo, s13
	s_load_b128 s[12:15], s[0:1], 0x38
	v_cmp_lt_i64_e64 s0, s[18:19], 2
	s_delay_alu instid0(VALU_DEP_1)
	s_and_b32 vcc_lo, exec_lo, s0
	s_cbranch_vccnz .LBB75_87
; %bb.41:
	s_add_u32 s30, s18, -1
	s_addc_u32 s31, s19, -1
	s_ashr_i32 s27, s26, 31
	s_mul_i32 s0, s19, s24
	s_lshl_b64 s[36:37], s[26:27], 3
	s_mul_hi_u32 s19, s18, s24
	s_sub_u32 s1, s34, s36
	s_subb_u32 s27, s35, s37
	s_add_i32 s19, s19, s0
	s_mul_i32 s18, s18, s24
	v_lshlrev_b32_e32 v3, 2, v0
	s_lshl_b64 s[34:35], s[18:19], 10
	v_lshlrev_b32_e32 v4, 4, v0
	s_add_u32 s0, s22, s34
	s_addc_u32 s22, s23, s35
	s_lshl_b64 s[18:19], s[18:19], 12
	v_add_co_u32 v3, s0, s0, v3
	s_delay_alu instid0(VALU_DEP_1) | instskip(SKIP_3) | instid1(VALU_DEP_1)
	v_add_co_ci_u32_e64 v5, null, s22, 0, s0
	s_add_u32 s0, s20, s18
	s_addc_u32 s18, s21, s19
	v_add_co_u32 v4, s0, s0, v4
	v_add_co_ci_u32_e64 v6, null, s18, 0, s0
	v_add_co_u32 v9, vcc_lo, 0x400, v3
	v_add_co_ci_u32_e32 v10, vcc_lo, 0, v5, vcc_lo
	s_delay_alu instid0(VALU_DEP_4) | instskip(NEXT) | instid1(VALU_DEP_4)
	v_add_co_u32 v11, vcc_lo, 0x1008, v4
	v_add_co_ci_u32_e32 v12, vcc_lo, 0, v6, vcc_lo
	v_add_co_u32 v7, vcc_lo, 0x100, v7
	v_add_nc_u32_e32 v25, -8, v16
	v_dual_mov_b32 v33, 0 :: v_dual_add_nc_u32 v26, -16, v16
	v_subrev_nc_u32_e32 v27, 32, v16
	v_subrev_nc_u32_e32 v28, 64, v16
	v_add_nc_u32_e32 v29, 0xffffff80, v16
	v_add_nc_u32_e32 v30, 0xffffff00, v16
	;; [unrolled: 1-line block ×4, first 2 shown]
	v_add_co_ci_u32_e32 v8, vcc_lo, 0, v8, vcc_lo
	s_mov_b64 s[18:19], 0
	s_branch .LBB75_43
.LBB75_42:                              ;   in Loop: Header=BB75_43 Depth=1
	s_or_b32 exec_lo, exec_lo, s20
	v_add_co_u32 v9, vcc_lo, 0x400, v9
	s_add_u32 s18, s18, 1
	v_add_co_ci_u32_e32 v10, vcc_lo, 0, v10, vcc_lo
	s_addc_u32 s19, s19, 0
	v_add_co_u32 v11, vcc_lo, 0x1000, v11
	v_cmp_le_u64_e64 s0, s[30:31], s[18:19]
	v_add_co_ci_u32_e32 v12, vcc_lo, 0, v12, vcc_lo
	v_add_co_u32 v7, vcc_lo, 0x100, v7
	v_add_co_ci_u32_e32 v8, vcc_lo, 0, v8, vcc_lo
	s_delay_alu instid0(VALU_DEP_4)
	s_and_b32 vcc_lo, exec_lo, s0
	s_cbranch_vccnz .LBB75_87
.LBB75_43:                              ; =>This Inner Loop Header: Depth=1
	v_mov_b32_e32 v3, -1
	v_dual_mov_b32 v4, -1 :: v_dual_mov_b32 v5, 0
	v_mov_b32_e32 v6, 0
	s_mov_b32 s0, exec_lo
	v_cmpx_gt_i64_e64 s[16:17], v[7:8]
	s_cbranch_execz .LBB75_45
; %bb.44:                               ;   in Loop: Header=BB75_43 Depth=1
	global_load_b128 v[3:6], v[11:12], off offset:-8 slc dlc
	global_load_b32 v13, v[9:10], off slc dlc
	s_waitcnt vmcnt(1)
	v_lshlrev_b64 v[5:6], 3, v[5:6]
	s_waitcnt vmcnt(0)
	v_cvt_f64_f32_e32 v[13:14], v13
	s_delay_alu instid0(VALU_DEP_2) | instskip(NEXT) | instid1(VALU_DEP_3)
	v_add_co_u32 v5, vcc_lo, s1, v5
	v_add_co_ci_u32_e32 v6, vcc_lo, s27, v6, vcc_lo
	v_sub_co_u32 v3, vcc_lo, v3, s26
	v_subrev_co_ci_u32_e32 v4, vcc_lo, 0, v4, vcc_lo
	global_load_b64 v[5:6], v[5:6], off
	s_waitcnt vmcnt(0)
	v_mul_f64 v[5:6], v[5:6], v[13:14]
.LBB75_45:                              ;   in Loop: Header=BB75_43 Depth=1
	s_or_b32 exec_lo, exec_lo, s0
	s_and_saveexec_b32 s0, s2
	s_cbranch_execz .LBB75_52
; %bb.46:                               ;   in Loop: Header=BB75_43 Depth=1
	ds_load_b64 v[13:14], v33 offset:2040
	s_mov_b32 s20, exec_lo
	s_waitcnt lgkmcnt(0)
	v_cmpx_ne_u64_e64 v[3:4], v[13:14]
	s_xor_b32 s20, exec_lo, s20
	s_cbranch_execz .LBB75_49
; %bb.47:                               ;   in Loop: Header=BB75_43 Depth=1
	v_cmp_gt_i64_e32 vcc_lo, 0, v[13:14]
	s_cbranch_vccnz .LBB75_49
; %bb.48:                               ;   in Loop: Header=BB75_43 Depth=1
	v_lshlrev_b64 v[13:14], 3, v[13:14]
	ds_load_b64 v[36:37], v33 offset:4088
	v_add_co_u32 v13, vcc_lo, s28, v13
	v_add_co_ci_u32_e32 v14, vcc_lo, s29, v14, vcc_lo
	global_load_b64 v[34:35], v[13:14], off
	s_waitcnt vmcnt(0) lgkmcnt(0)
	v_fma_f64 v[34:35], v[1:2], v[36:37], v[34:35]
	global_store_b64 v[13:14], v[34:35], off
.LBB75_49:                              ;   in Loop: Header=BB75_43 Depth=1
	s_and_not1_saveexec_b32 s20, s20
	s_cbranch_execz .LBB75_51
; %bb.50:                               ;   in Loop: Header=BB75_43 Depth=1
	ds_load_b64 v[13:14], v33 offset:4088
	s_waitcnt lgkmcnt(0)
	v_add_f64 v[5:6], v[5:6], v[13:14]
.LBB75_51:                              ;   in Loop: Header=BB75_43 Depth=1
	s_or_b32 exec_lo, exec_lo, s20
.LBB75_52:                              ;   in Loop: Header=BB75_43 Depth=1
	s_delay_alu instid0(SALU_CYCLE_1)
	s_or_b32 exec_lo, exec_lo, s0
	s_waitcnt lgkmcnt(0)
	s_waitcnt_vscnt null, 0x0
	s_barrier
	buffer_gl0_inv
	ds_store_b64 v15, v[3:4]
	ds_store_b64 v16, v[5:6]
	s_waitcnt lgkmcnt(0)
	s_barrier
	buffer_gl0_inv
	s_and_saveexec_b32 s0, s3
	s_cbranch_execz .LBB75_56
; %bb.53:                               ;   in Loop: Header=BB75_43 Depth=1
	ds_load_b64 v[13:14], v17
	s_mov_b32 s20, exec_lo
	s_waitcnt lgkmcnt(0)
	v_cmpx_eq_u64_e64 v[3:4], v[13:14]
	s_cbranch_execz .LBB75_55
; %bb.54:                               ;   in Loop: Header=BB75_43 Depth=1
	ds_load_b64 v[13:14], v25
	s_waitcnt lgkmcnt(0)
	v_add_f64 v[5:6], v[5:6], v[13:14]
.LBB75_55:                              ;   in Loop: Header=BB75_43 Depth=1
	s_or_b32 exec_lo, exec_lo, s20
.LBB75_56:                              ;   in Loop: Header=BB75_43 Depth=1
	s_delay_alu instid0(SALU_CYCLE_1)
	s_or_b32 exec_lo, exec_lo, s0
	s_barrier
	buffer_gl0_inv
	ds_store_b64 v16, v[5:6]
	s_waitcnt lgkmcnt(0)
	s_barrier
	buffer_gl0_inv
	s_and_saveexec_b32 s0, s4
	s_cbranch_execz .LBB75_60
; %bb.57:                               ;   in Loop: Header=BB75_43 Depth=1
	ds_load_b64 v[13:14], v18
	s_mov_b32 s20, exec_lo
	s_waitcnt lgkmcnt(0)
	v_cmpx_eq_u64_e64 v[3:4], v[13:14]
	s_cbranch_execz .LBB75_59
; %bb.58:                               ;   in Loop: Header=BB75_43 Depth=1
	ds_load_b64 v[13:14], v26
	s_waitcnt lgkmcnt(0)
	v_add_f64 v[5:6], v[5:6], v[13:14]
.LBB75_59:                              ;   in Loop: Header=BB75_43 Depth=1
	s_or_b32 exec_lo, exec_lo, s20
.LBB75_60:                              ;   in Loop: Header=BB75_43 Depth=1
	s_delay_alu instid0(SALU_CYCLE_1)
	s_or_b32 exec_lo, exec_lo, s0
	s_barrier
	buffer_gl0_inv
	;; [unrolled: 23-line block ×8, first 2 shown]
	ds_store_b64 v16, v[5:6]
	s_waitcnt lgkmcnt(0)
	s_barrier
	buffer_gl0_inv
	s_and_saveexec_b32 s20, s11
	s_cbranch_execz .LBB75_42
; %bb.85:                               ;   in Loop: Header=BB75_43 Depth=1
	ds_load_b64 v[13:14], v15 offset:8
	v_cmp_lt_i64_e64 s0, -1, v[3:4]
	s_waitcnt lgkmcnt(0)
	v_cmp_ne_u64_e32 vcc_lo, v[3:4], v[13:14]
	s_delay_alu instid0(VALU_DEP_2) | instskip(NEXT) | instid1(SALU_CYCLE_1)
	s_and_b32 s0, s0, vcc_lo
	s_and_b32 exec_lo, exec_lo, s0
	s_cbranch_execz .LBB75_42
; %bb.86:                               ;   in Loop: Header=BB75_43 Depth=1
	v_lshlrev_b64 v[13:14], 3, v[3:4]
	s_delay_alu instid0(VALU_DEP_1) | instskip(NEXT) | instid1(VALU_DEP_2)
	v_add_co_u32 v13, vcc_lo, s28, v13
	v_add_co_ci_u32_e32 v14, vcc_lo, s29, v14, vcc_lo
	global_load_b64 v[34:35], v[13:14], off
	s_waitcnt vmcnt(0)
	v_fma_f64 v[34:35], v[1:2], v[5:6], v[34:35]
	global_store_b64 v[13:14], v[34:35], off
	s_branch .LBB75_42
.LBB75_87:
	v_cmp_eq_u32_e32 vcc_lo, 0xff, v0
	s_and_b32 exec_lo, exec_lo, vcc_lo
	s_cbranch_execz .LBB75_89
; %bb.88:
	v_mul_f64 v[0:1], v[1:2], v[5:6]
	s_lshl_b64 s[0:1], s[24:25], 3
	v_mov_b32_e32 v2, 0
	s_waitcnt lgkmcnt(0)
	s_add_u32 s2, s12, s0
	s_addc_u32 s3, s13, s1
	s_add_u32 s0, s14, s0
	s_addc_u32 s1, s15, s1
	s_clause 0x1
	global_store_b64 v2, v[3:4], s[2:3] glc slc dlc
	global_store_b64 v2, v[0:1], s[0:1] glc slc dlc
.LBB75_89:
	s_nop 0
	s_sendmsg sendmsg(MSG_DEALLOC_VGPRS)
	s_endpgm
	.section	.rodata,"a",@progbits
	.p2align	6, 0x0
	.amdhsa_kernel _ZN9rocsparseL26coomvn_aos_segmented_loopsILj256ElfdddEEvlT0_NS_24const_host_device_scalarIT4_EEPKS1_PKT1_PKT2_PT3_PS1_PS3_21rocsparse_index_base_b
		.amdhsa_group_segment_fixed_size 4096
		.amdhsa_private_segment_fixed_size 0
		.amdhsa_kernarg_size 80
		.amdhsa_user_sgpr_count 15
		.amdhsa_user_sgpr_dispatch_ptr 0
		.amdhsa_user_sgpr_queue_ptr 0
		.amdhsa_user_sgpr_kernarg_segment_ptr 1
		.amdhsa_user_sgpr_dispatch_id 0
		.amdhsa_user_sgpr_private_segment_size 0
		.amdhsa_wavefront_size32 1
		.amdhsa_uses_dynamic_stack 0
		.amdhsa_enable_private_segment 0
		.amdhsa_system_sgpr_workgroup_id_x 1
		.amdhsa_system_sgpr_workgroup_id_y 0
		.amdhsa_system_sgpr_workgroup_id_z 0
		.amdhsa_system_sgpr_workgroup_info 0
		.amdhsa_system_vgpr_workitem_id 0
		.amdhsa_next_free_vgpr 38
		.amdhsa_next_free_sgpr 38
		.amdhsa_reserve_vcc 1
		.amdhsa_float_round_mode_32 0
		.amdhsa_float_round_mode_16_64 0
		.amdhsa_float_denorm_mode_32 3
		.amdhsa_float_denorm_mode_16_64 3
		.amdhsa_dx10_clamp 1
		.amdhsa_ieee_mode 1
		.amdhsa_fp16_overflow 0
		.amdhsa_workgroup_processor_mode 1
		.amdhsa_memory_ordered 1
		.amdhsa_forward_progress 0
		.amdhsa_shared_vgpr_count 0
		.amdhsa_exception_fp_ieee_invalid_op 0
		.amdhsa_exception_fp_denorm_src 0
		.amdhsa_exception_fp_ieee_div_zero 0
		.amdhsa_exception_fp_ieee_overflow 0
		.amdhsa_exception_fp_ieee_underflow 0
		.amdhsa_exception_fp_ieee_inexact 0
		.amdhsa_exception_int_div_zero 0
	.end_amdhsa_kernel
	.section	.text._ZN9rocsparseL26coomvn_aos_segmented_loopsILj256ElfdddEEvlT0_NS_24const_host_device_scalarIT4_EEPKS1_PKT1_PKT2_PT3_PS1_PS3_21rocsparse_index_base_b,"axG",@progbits,_ZN9rocsparseL26coomvn_aos_segmented_loopsILj256ElfdddEEvlT0_NS_24const_host_device_scalarIT4_EEPKS1_PKT1_PKT2_PT3_PS1_PS3_21rocsparse_index_base_b,comdat
.Lfunc_end75:
	.size	_ZN9rocsparseL26coomvn_aos_segmented_loopsILj256ElfdddEEvlT0_NS_24const_host_device_scalarIT4_EEPKS1_PKT1_PKT2_PT3_PS1_PS3_21rocsparse_index_base_b, .Lfunc_end75-_ZN9rocsparseL26coomvn_aos_segmented_loopsILj256ElfdddEEvlT0_NS_24const_host_device_scalarIT4_EEPKS1_PKT1_PKT2_PT3_PS1_PS3_21rocsparse_index_base_b
                                        ; -- End function
	.section	.AMDGPU.csdata,"",@progbits
; Kernel info:
; codeLenInByte = 3188
; NumSgprs: 40
; NumVgprs: 38
; ScratchSize: 0
; MemoryBound: 1
; FloatMode: 240
; IeeeMode: 1
; LDSByteSize: 4096 bytes/workgroup (compile time only)
; SGPRBlocks: 4
; VGPRBlocks: 4
; NumSGPRsForWavesPerEU: 40
; NumVGPRsForWavesPerEU: 38
; Occupancy: 16
; WaveLimiterHint : 1
; COMPUTE_PGM_RSRC2:SCRATCH_EN: 0
; COMPUTE_PGM_RSRC2:USER_SGPR: 15
; COMPUTE_PGM_RSRC2:TRAP_HANDLER: 0
; COMPUTE_PGM_RSRC2:TGID_X_EN: 1
; COMPUTE_PGM_RSRC2:TGID_Y_EN: 0
; COMPUTE_PGM_RSRC2:TGID_Z_EN: 0
; COMPUTE_PGM_RSRC2:TIDIG_COMP_CNT: 0
	.section	.text._ZN9rocsparseL23coomvn_aos_atomic_loopsILj256ELj1Ei21rocsparse_complex_numIfES1_IdES3_S3_EEvlNS_24const_host_device_scalarIT5_EEPKT1_PKT2_PKT3_PT4_21rocsparse_index_base_b,"axG",@progbits,_ZN9rocsparseL23coomvn_aos_atomic_loopsILj256ELj1Ei21rocsparse_complex_numIfES1_IdES3_S3_EEvlNS_24const_host_device_scalarIT5_EEPKT1_PKT2_PKT3_PT4_21rocsparse_index_base_b,comdat
	.globl	_ZN9rocsparseL23coomvn_aos_atomic_loopsILj256ELj1Ei21rocsparse_complex_numIfES1_IdES3_S3_EEvlNS_24const_host_device_scalarIT5_EEPKT1_PKT2_PKT3_PT4_21rocsparse_index_base_b ; -- Begin function _ZN9rocsparseL23coomvn_aos_atomic_loopsILj256ELj1Ei21rocsparse_complex_numIfES1_IdES3_S3_EEvlNS_24const_host_device_scalarIT5_EEPKT1_PKT2_PKT3_PT4_21rocsparse_index_base_b
	.p2align	8
	.type	_ZN9rocsparseL23coomvn_aos_atomic_loopsILj256ELj1Ei21rocsparse_complex_numIfES1_IdES3_S3_EEvlNS_24const_host_device_scalarIT5_EEPKT1_PKT2_PKT3_PT4_21rocsparse_index_base_b,@function
_ZN9rocsparseL23coomvn_aos_atomic_loopsILj256ELj1Ei21rocsparse_complex_numIfES1_IdES3_S3_EEvlNS_24const_host_device_scalarIT5_EEPKT1_PKT2_PKT3_PT4_21rocsparse_index_base_b: ; @_ZN9rocsparseL23coomvn_aos_atomic_loopsILj256ELj1Ei21rocsparse_complex_numIfES1_IdES3_S3_EEvlNS_24const_host_device_scalarIT5_EEPKT1_PKT2_PKT3_PT4_21rocsparse_index_base_b
; %bb.0:
	s_load_b64 s[0:1], s[0:1], 0x4
	s_clause 0x1
	s_load_b128 s[4:7], s[2:3], 0x0
	s_load_b64 s[10:11], s[2:3], 0x10
	v_and_b32_e32 v17, 0x3ff, v0
	s_load_b64 s[8:9], s[2:3], 0x38
	v_bfe_u32 v2, v0, 10, 10
	v_bfe_u32 v0, v0, 20, 10
	s_waitcnt lgkmcnt(0)
	s_lshr_b32 s0, s0, 16
	s_delay_alu instid0(SALU_CYCLE_1)
	s_mul_i32 s0, s0, s1
	v_mov_b32_e32 v10, s10
	v_mul_lo_u32 v1, s0, v17
	s_and_b32 s9, 1, s9
	v_mov_b32_e32 v11, s11
	s_cmp_eq_u32 s9, 1
	s_cselect_b32 vcc_lo, -1, 0
	s_delay_alu instid0(VALU_DEP_2) | instskip(SKIP_3) | instid1(VALU_DEP_3)
	v_mad_u32_u24 v1, v2, s1, v1
	v_mov_b32_e32 v2, s6
	s_mov_b64 s[0:1], src_shared_base
	v_mov_b32_e32 v3, s7
	v_add_lshl_u32 v4, v1, v0, 3
	s_delay_alu instid0(VALU_DEP_1) | instskip(SKIP_4) | instid1(SALU_CYCLE_1)
	v_add_nc_u32_e32 v0, 0x1400, v4
	ds_store_b64 v4, v[2:3] offset:5120
	v_cndmask_b32_e32 v0, s6, v0, vcc_lo
	s_and_b32 vcc_lo, exec_lo, vcc_lo
	s_cselect_b32 s0, s1, s7
	v_mov_b32_e32 v1, s0
	flat_load_b64 v[8:9], v[0:1]
	s_cbranch_vccnz .LBB76_2
; %bb.1:
	v_dual_mov_b32 v0, s6 :: v_dual_mov_b32 v1, s7
	flat_load_b64 v[10:11], v[0:1] offset:8
.LBB76_2:
	s_waitcnt vmcnt(0) lgkmcnt(0)
	v_cmp_neq_f64_e32 vcc_lo, 0, v[8:9]
	v_cmp_neq_f64_e64 s0, 0, v[10:11]
	s_delay_alu instid0(VALU_DEP_1) | instskip(NEXT) | instid1(SALU_CYCLE_1)
	s_or_b32 s0, vcc_lo, s0
	s_and_saveexec_b32 s1, s0
	s_cbranch_execz .LBB76_48
; %bb.3:
	v_dual_mov_b32 v5, 0 :: v_dual_mov_b32 v0, 0
	v_dual_mov_b32 v1, 0 :: v_dual_mov_b32 v12, -1
	v_lshl_or_b32 v4, s15, 8, v17
	s_mov_b32 s0, exec_lo
	s_delay_alu instid0(VALU_DEP_2) | instskip(NEXT) | instid1(VALU_DEP_2)
	v_dual_mov_b32 v3, v1 :: v_dual_mov_b32 v2, v0
	v_cmpx_gt_i64_e64 s[4:5], v[4:5]
	s_cbranch_execz .LBB76_5
; %bb.4:
	s_clause 0x1
	s_load_b128 s[4:7], s[2:3], 0x18
	s_load_b64 s[10:11], s[2:3], 0x28
	v_lshlrev_b64 v[0:1], 3, v[4:5]
	s_waitcnt lgkmcnt(0)
	s_delay_alu instid0(VALU_DEP_1) | instskip(NEXT) | instid1(VALU_DEP_2)
	v_add_co_u32 v2, vcc_lo, s4, v0
	v_add_co_ci_u32_e32 v3, vcc_lo, s5, v1, vcc_lo
	v_add_co_u32 v0, vcc_lo, s6, v0
	v_add_co_ci_u32_e32 v1, vcc_lo, s7, v1, vcc_lo
	global_load_b64 v[6:7], v[2:3], off slc dlc
	global_load_b64 v[0:1], v[0:1], off slc dlc
	s_waitcnt vmcnt(1)
	v_subrev_nc_u32_e32 v2, s8, v7
	s_waitcnt vmcnt(0)
	v_cvt_f64_f32_e32 v[12:13], v1
	v_cvt_f64_f32_e32 v[0:1], v0
	s_delay_alu instid0(VALU_DEP_3) | instskip(NEXT) | instid1(VALU_DEP_1)
	v_ashrrev_i32_e32 v3, 31, v2
	v_lshlrev_b64 v[2:3], 4, v[2:3]
	s_delay_alu instid0(VALU_DEP_1) | instskip(NEXT) | instid1(VALU_DEP_2)
	v_add_co_u32 v2, vcc_lo, s10, v2
	v_add_co_ci_u32_e32 v3, vcc_lo, s11, v3, vcc_lo
	global_load_b128 v[2:5], v[2:3], off
	s_waitcnt vmcnt(0)
	v_mul_f64 v[14:15], v[4:5], -v[12:13]
	v_mul_f64 v[4:5], v[4:5], v[0:1]
	s_delay_alu instid0(VALU_DEP_2) | instskip(NEXT) | instid1(VALU_DEP_2)
	v_fma_f64 v[0:1], v[0:1], v[2:3], v[14:15]
	v_fma_f64 v[2:3], v[12:13], v[2:3], v[4:5]
	v_subrev_nc_u32_e32 v12, s8, v6
.LBB76_5:
	s_or_b32 exec_lo, exec_lo, s0
	v_lshlrev_b32_e32 v6, 2, v17
	v_lshlrev_b32_e32 v4, 4, v17
	s_mov_b32 s0, exec_lo
	ds_store_b32 v6, v12 offset:4096
	ds_store_b128 v4, v[0:3]
	v_or_b32_e32 v5, 0x1000, v6
	s_waitcnt lgkmcnt(0)
	s_barrier
	buffer_gl0_inv
	v_cmpx_ne_u32_e32 0, v17
	s_cbranch_execz .LBB76_9
; %bb.6:
	v_add_nc_u32_e32 v6, -4, v5
	s_mov_b32 s1, exec_lo
	ds_load_b32 v6, v6
	s_waitcnt lgkmcnt(0)
	v_cmpx_eq_u32_e64 v12, v6
	s_cbranch_execz .LBB76_8
; %bb.7:
	v_add_nc_u32_e32 v6, -16, v4
	ds_load_b128 v[13:16], v6
	s_waitcnt lgkmcnt(0)
	v_add_f64 v[0:1], v[0:1], v[13:14]
	v_add_f64 v[2:3], v[2:3], v[15:16]
.LBB76_8:
	s_or_b32 exec_lo, exec_lo, s1
.LBB76_9:
	s_delay_alu instid0(SALU_CYCLE_1) | instskip(NEXT) | instid1(SALU_CYCLE_1)
	s_or_b32 exec_lo, exec_lo, s0
	s_mov_b32 s0, exec_lo
	s_barrier
	buffer_gl0_inv
	ds_store_b128 v4, v[0:3]
	s_waitcnt lgkmcnt(0)
	s_barrier
	buffer_gl0_inv
	v_cmpx_lt_u32_e32 1, v17
	s_cbranch_execz .LBB76_13
; %bb.10:
	v_add_nc_u32_e32 v6, -8, v5
	s_mov_b32 s1, exec_lo
	ds_load_b32 v6, v6
	s_waitcnt lgkmcnt(0)
	v_cmpx_eq_u32_e64 v12, v6
	s_cbranch_execz .LBB76_12
; %bb.11:
	v_subrev_nc_u32_e32 v6, 32, v4
	ds_load_b128 v[13:16], v6
	s_waitcnt lgkmcnt(0)
	v_add_f64 v[0:1], v[0:1], v[13:14]
	v_add_f64 v[2:3], v[2:3], v[15:16]
.LBB76_12:
	s_or_b32 exec_lo, exec_lo, s1
.LBB76_13:
	s_delay_alu instid0(SALU_CYCLE_1) | instskip(NEXT) | instid1(SALU_CYCLE_1)
	s_or_b32 exec_lo, exec_lo, s0
	s_mov_b32 s0, exec_lo
	s_barrier
	buffer_gl0_inv
	ds_store_b128 v4, v[0:3]
	s_waitcnt lgkmcnt(0)
	s_barrier
	buffer_gl0_inv
	v_cmpx_lt_u32_e32 3, v17
	s_cbranch_execz .LBB76_17
; %bb.14:
	v_add_nc_u32_e32 v6, -16, v5
	s_mov_b32 s1, exec_lo
	ds_load_b32 v6, v6
	s_waitcnt lgkmcnt(0)
	v_cmpx_eq_u32_e64 v12, v6
	s_cbranch_execz .LBB76_16
; %bb.15:
	v_subrev_nc_u32_e32 v6, 64, v4
	ds_load_b128 v[13:16], v6
	s_waitcnt lgkmcnt(0)
	v_add_f64 v[0:1], v[0:1], v[13:14]
	v_add_f64 v[2:3], v[2:3], v[15:16]
.LBB76_16:
	s_or_b32 exec_lo, exec_lo, s1
.LBB76_17:
	s_delay_alu instid0(SALU_CYCLE_1) | instskip(NEXT) | instid1(SALU_CYCLE_1)
	s_or_b32 exec_lo, exec_lo, s0
	s_mov_b32 s0, exec_lo
	s_barrier
	buffer_gl0_inv
	ds_store_b128 v4, v[0:3]
	s_waitcnt lgkmcnt(0)
	s_barrier
	buffer_gl0_inv
	v_cmpx_lt_u32_e32 7, v17
	s_cbranch_execz .LBB76_21
; %bb.18:
	v_subrev_nc_u32_e32 v6, 32, v5
	s_mov_b32 s1, exec_lo
	ds_load_b32 v6, v6
	s_waitcnt lgkmcnt(0)
	v_cmpx_eq_u32_e64 v12, v6
	s_cbranch_execz .LBB76_20
; %bb.19:
	v_add_nc_u32_e32 v6, 0xffffff80, v4
	ds_load_b128 v[13:16], v6
	s_waitcnt lgkmcnt(0)
	v_add_f64 v[0:1], v[0:1], v[13:14]
	v_add_f64 v[2:3], v[2:3], v[15:16]
.LBB76_20:
	s_or_b32 exec_lo, exec_lo, s1
.LBB76_21:
	s_delay_alu instid0(SALU_CYCLE_1) | instskip(NEXT) | instid1(SALU_CYCLE_1)
	s_or_b32 exec_lo, exec_lo, s0
	s_mov_b32 s0, exec_lo
	s_barrier
	buffer_gl0_inv
	ds_store_b128 v4, v[0:3]
	s_waitcnt lgkmcnt(0)
	s_barrier
	buffer_gl0_inv
	v_cmpx_lt_u32_e32 15, v17
	s_cbranch_execz .LBB76_25
; %bb.22:
	v_subrev_nc_u32_e32 v6, 64, v5
	s_mov_b32 s1, exec_lo
	ds_load_b32 v6, v6
	s_waitcnt lgkmcnt(0)
	v_cmpx_eq_u32_e64 v12, v6
	s_cbranch_execz .LBB76_24
; %bb.23:
	v_add_nc_u32_e32 v6, 0xffffff00, v4
	ds_load_b128 v[13:16], v6
	s_waitcnt lgkmcnt(0)
	v_add_f64 v[0:1], v[0:1], v[13:14]
	v_add_f64 v[2:3], v[2:3], v[15:16]
.LBB76_24:
	s_or_b32 exec_lo, exec_lo, s1
.LBB76_25:
	s_delay_alu instid0(SALU_CYCLE_1) | instskip(NEXT) | instid1(SALU_CYCLE_1)
	s_or_b32 exec_lo, exec_lo, s0
	s_mov_b32 s0, exec_lo
	s_barrier
	buffer_gl0_inv
	ds_store_b128 v4, v[0:3]
	s_waitcnt lgkmcnt(0)
	s_barrier
	buffer_gl0_inv
	v_cmpx_lt_u32_e32 31, v17
	s_cbranch_execz .LBB76_29
; %bb.26:
	v_add_nc_u32_e32 v6, 0xffffff80, v5
	s_mov_b32 s1, exec_lo
	ds_load_b32 v6, v6
	s_waitcnt lgkmcnt(0)
	v_cmpx_eq_u32_e64 v12, v6
	s_cbranch_execz .LBB76_28
; %bb.27:
	v_add_nc_u32_e32 v6, 0xfffffe00, v4
	ds_load_b128 v[13:16], v6
	s_waitcnt lgkmcnt(0)
	v_add_f64 v[0:1], v[0:1], v[13:14]
	v_add_f64 v[2:3], v[2:3], v[15:16]
.LBB76_28:
	s_or_b32 exec_lo, exec_lo, s1
.LBB76_29:
	s_delay_alu instid0(SALU_CYCLE_1) | instskip(NEXT) | instid1(SALU_CYCLE_1)
	s_or_b32 exec_lo, exec_lo, s0
	s_mov_b32 s0, exec_lo
	s_barrier
	buffer_gl0_inv
	ds_store_b128 v4, v[0:3]
	s_waitcnt lgkmcnt(0)
	s_barrier
	buffer_gl0_inv
	v_cmpx_lt_u32_e32 63, v17
	s_cbranch_execz .LBB76_33
; %bb.30:
	v_add_nc_u32_e32 v6, 0xffffff00, v5
	s_mov_b32 s1, exec_lo
	ds_load_b32 v6, v6
	s_waitcnt lgkmcnt(0)
	v_cmpx_eq_u32_e64 v12, v6
	s_cbranch_execz .LBB76_32
; %bb.31:
	v_add_nc_u32_e32 v6, 0xfffffc00, v4
	ds_load_b128 v[13:16], v6
	s_waitcnt lgkmcnt(0)
	v_add_f64 v[0:1], v[0:1], v[13:14]
	v_add_f64 v[2:3], v[2:3], v[15:16]
.LBB76_32:
	s_or_b32 exec_lo, exec_lo, s1
.LBB76_33:
	s_delay_alu instid0(SALU_CYCLE_1)
	s_or_b32 exec_lo, exec_lo, s0
	s_load_b64 s[2:3], s[2:3], 0x30
	s_mov_b32 s0, exec_lo
	s_waitcnt lgkmcnt(0)
	s_barrier
	buffer_gl0_inv
	ds_store_b128 v4, v[0:3]
	s_waitcnt lgkmcnt(0)
	s_barrier
	buffer_gl0_inv
	v_cmpx_lt_u32_e32 0x7f, v17
	s_cbranch_execz .LBB76_37
; %bb.34:
	v_add_nc_u32_e32 v6, 0xfffffe00, v5
	s_mov_b32 s1, exec_lo
	ds_load_b32 v6, v6
	s_waitcnt lgkmcnt(0)
	v_cmpx_eq_u32_e64 v12, v6
	s_cbranch_execz .LBB76_36
; %bb.35:
	v_add_nc_u32_e32 v6, 0xfffff800, v4
	ds_load_b128 v[13:16], v6
	s_waitcnt lgkmcnt(0)
	v_add_f64 v[0:1], v[0:1], v[13:14]
	v_add_f64 v[2:3], v[2:3], v[15:16]
.LBB76_36:
	s_or_b32 exec_lo, exec_lo, s1
.LBB76_37:
	s_delay_alu instid0(SALU_CYCLE_1) | instskip(NEXT) | instid1(SALU_CYCLE_1)
	s_or_b32 exec_lo, exec_lo, s0
	s_mov_b32 s1, exec_lo
	s_barrier
	buffer_gl0_inv
	ds_store_b128 v4, v[0:3]
	s_waitcnt lgkmcnt(0)
	s_barrier
	buffer_gl0_inv
	v_cmpx_gt_u32_e32 0xff, v17
	s_cbranch_execz .LBB76_43
; %bb.38:
	ds_load_b32 v4, v5 offset:4
	v_cmp_lt_i32_e64 s0, -1, v12
	s_waitcnt lgkmcnt(0)
	v_cmp_ne_u32_e32 vcc_lo, v12, v4
	s_delay_alu instid0(VALU_DEP_2) | instskip(NEXT) | instid1(SALU_CYCLE_1)
	s_and_b32 s0, s0, vcc_lo
	s_and_b32 exec_lo, exec_lo, s0
	s_cbranch_execz .LBB76_43
; %bb.39:
	v_mov_b32_e32 v13, 0
	s_mov_b32 s0, 0
	s_delay_alu instid0(VALU_DEP_1) | instskip(NEXT) | instid1(VALU_DEP_1)
	v_lshlrev_b64 v[4:5], 4, v[12:13]
	v_add_co_u32 v13, vcc_lo, s2, v4
	s_delay_alu instid0(VALU_DEP_2)
	v_add_co_ci_u32_e32 v14, vcc_lo, s3, v5, vcc_lo
	v_mul_f64 v[4:5], v[2:3], -v[10:11]
	global_load_b64 v[6:7], v[13:14], off
	v_fma_f64 v[15:16], v[8:9], v[0:1], v[4:5]
.LBB76_40:                              ; =>This Inner Loop Header: Depth=1
	s_waitcnt vmcnt(0)
	s_delay_alu instid0(VALU_DEP_1)
	v_add_f64 v[4:5], v[6:7], v[15:16]
	global_atomic_cmpswap_b64 v[4:5], v[13:14], v[4:7], off glc
	s_waitcnt vmcnt(0)
	v_cmp_eq_u64_e32 vcc_lo, v[4:5], v[6:7]
	v_dual_mov_b32 v7, v5 :: v_dual_mov_b32 v6, v4
	s_or_b32 s0, vcc_lo, s0
	s_delay_alu instid0(SALU_CYCLE_1)
	s_and_not1_b32 exec_lo, exec_lo, s0
	s_cbranch_execnz .LBB76_40
; %bb.41:
	s_or_b32 exec_lo, exec_lo, s0
	global_load_b64 v[6:7], v[13:14], off offset:8
	v_mul_f64 v[4:5], v[8:9], v[2:3]
	s_mov_b32 s0, 0
	s_delay_alu instid0(VALU_DEP_1)
	v_fma_f64 v[15:16], v[10:11], v[0:1], v[4:5]
.LBB76_42:                              ; =>This Inner Loop Header: Depth=1
	s_waitcnt vmcnt(0)
	s_delay_alu instid0(VALU_DEP_1)
	v_add_f64 v[4:5], v[6:7], v[15:16]
	global_atomic_cmpswap_b64 v[4:5], v[13:14], v[4:7], off offset:8 glc
	s_waitcnt vmcnt(0)
	v_cmp_eq_u64_e32 vcc_lo, v[4:5], v[6:7]
	v_dual_mov_b32 v7, v5 :: v_dual_mov_b32 v6, v4
	s_or_b32 s0, vcc_lo, s0
	s_delay_alu instid0(SALU_CYCLE_1)
	s_and_not1_b32 exec_lo, exec_lo, s0
	s_cbranch_execnz .LBB76_42
.LBB76_43:
	s_or_b32 exec_lo, exec_lo, s1
	v_cmp_eq_u32_e32 vcc_lo, 0xff, v17
	v_cmp_lt_i32_e64 s0, -1, v12
	s_delay_alu instid0(VALU_DEP_1) | instskip(NEXT) | instid1(SALU_CYCLE_1)
	s_and_b32 s0, vcc_lo, s0
	s_and_b32 exec_lo, exec_lo, s0
	s_cbranch_execz .LBB76_48
; %bb.44:
	v_mov_b32_e32 v13, 0
	s_mov_b32 s0, 0
	s_delay_alu instid0(VALU_DEP_1) | instskip(NEXT) | instid1(VALU_DEP_1)
	v_lshlrev_b64 v[4:5], 4, v[12:13]
	v_add_co_u32 v12, vcc_lo, s2, v4
	s_delay_alu instid0(VALU_DEP_2)
	v_add_co_ci_u32_e32 v13, vcc_lo, s3, v5, vcc_lo
	v_mul_f64 v[4:5], v[2:3], -v[10:11]
	global_load_b64 v[6:7], v[12:13], off
	v_fma_f64 v[14:15], v[8:9], v[0:1], v[4:5]
.LBB76_45:                              ; =>This Inner Loop Header: Depth=1
	s_waitcnt vmcnt(0)
	s_delay_alu instid0(VALU_DEP_1)
	v_add_f64 v[4:5], v[6:7], v[14:15]
	global_atomic_cmpswap_b64 v[4:5], v[12:13], v[4:7], off glc
	s_waitcnt vmcnt(0)
	v_cmp_eq_u64_e32 vcc_lo, v[4:5], v[6:7]
	v_dual_mov_b32 v7, v5 :: v_dual_mov_b32 v6, v4
	s_or_b32 s0, vcc_lo, s0
	s_delay_alu instid0(SALU_CYCLE_1)
	s_and_not1_b32 exec_lo, exec_lo, s0
	s_cbranch_execnz .LBB76_45
; %bb.46:
	s_or_b32 exec_lo, exec_lo, s0
	global_load_b64 v[4:5], v[12:13], off offset:8
	v_mul_f64 v[2:3], v[8:9], v[2:3]
	s_mov_b32 s0, 0
	s_delay_alu instid0(VALU_DEP_1)
	v_fma_f64 v[0:1], v[10:11], v[0:1], v[2:3]
.LBB76_47:                              ; =>This Inner Loop Header: Depth=1
	s_waitcnt vmcnt(0)
	s_delay_alu instid0(VALU_DEP_1)
	v_add_f64 v[2:3], v[4:5], v[0:1]
	global_atomic_cmpswap_b64 v[2:3], v[12:13], v[2:5], off offset:8 glc
	s_waitcnt vmcnt(0)
	v_cmp_eq_u64_e32 vcc_lo, v[2:3], v[4:5]
	v_dual_mov_b32 v5, v3 :: v_dual_mov_b32 v4, v2
	s_or_b32 s0, vcc_lo, s0
	s_delay_alu instid0(SALU_CYCLE_1)
	s_and_not1_b32 exec_lo, exec_lo, s0
	s_cbranch_execnz .LBB76_47
.LBB76_48:
	s_endpgm
	.section	.rodata,"a",@progbits
	.p2align	6, 0x0
	.amdhsa_kernel _ZN9rocsparseL23coomvn_aos_atomic_loopsILj256ELj1Ei21rocsparse_complex_numIfES1_IdES3_S3_EEvlNS_24const_host_device_scalarIT5_EEPKT1_PKT2_PKT3_PT4_21rocsparse_index_base_b
		.amdhsa_group_segment_fixed_size 7168
		.amdhsa_private_segment_fixed_size 0
		.amdhsa_kernarg_size 64
		.amdhsa_user_sgpr_count 15
		.amdhsa_user_sgpr_dispatch_ptr 1
		.amdhsa_user_sgpr_queue_ptr 0
		.amdhsa_user_sgpr_kernarg_segment_ptr 1
		.amdhsa_user_sgpr_dispatch_id 0
		.amdhsa_user_sgpr_private_segment_size 0
		.amdhsa_wavefront_size32 1
		.amdhsa_uses_dynamic_stack 0
		.amdhsa_enable_private_segment 0
		.amdhsa_system_sgpr_workgroup_id_x 1
		.amdhsa_system_sgpr_workgroup_id_y 0
		.amdhsa_system_sgpr_workgroup_id_z 0
		.amdhsa_system_sgpr_workgroup_info 0
		.amdhsa_system_vgpr_workitem_id 2
		.amdhsa_next_free_vgpr 18
		.amdhsa_next_free_sgpr 16
		.amdhsa_reserve_vcc 1
		.amdhsa_float_round_mode_32 0
		.amdhsa_float_round_mode_16_64 0
		.amdhsa_float_denorm_mode_32 3
		.amdhsa_float_denorm_mode_16_64 3
		.amdhsa_dx10_clamp 1
		.amdhsa_ieee_mode 1
		.amdhsa_fp16_overflow 0
		.amdhsa_workgroup_processor_mode 1
		.amdhsa_memory_ordered 1
		.amdhsa_forward_progress 0
		.amdhsa_shared_vgpr_count 0
		.amdhsa_exception_fp_ieee_invalid_op 0
		.amdhsa_exception_fp_denorm_src 0
		.amdhsa_exception_fp_ieee_div_zero 0
		.amdhsa_exception_fp_ieee_overflow 0
		.amdhsa_exception_fp_ieee_underflow 0
		.amdhsa_exception_fp_ieee_inexact 0
		.amdhsa_exception_int_div_zero 0
	.end_amdhsa_kernel
	.section	.text._ZN9rocsparseL23coomvn_aos_atomic_loopsILj256ELj1Ei21rocsparse_complex_numIfES1_IdES3_S3_EEvlNS_24const_host_device_scalarIT5_EEPKT1_PKT2_PKT3_PT4_21rocsparse_index_base_b,"axG",@progbits,_ZN9rocsparseL23coomvn_aos_atomic_loopsILj256ELj1Ei21rocsparse_complex_numIfES1_IdES3_S3_EEvlNS_24const_host_device_scalarIT5_EEPKT1_PKT2_PKT3_PT4_21rocsparse_index_base_b,comdat
.Lfunc_end76:
	.size	_ZN9rocsparseL23coomvn_aos_atomic_loopsILj256ELj1Ei21rocsparse_complex_numIfES1_IdES3_S3_EEvlNS_24const_host_device_scalarIT5_EEPKT1_PKT2_PKT3_PT4_21rocsparse_index_base_b, .Lfunc_end76-_ZN9rocsparseL23coomvn_aos_atomic_loopsILj256ELj1Ei21rocsparse_complex_numIfES1_IdES3_S3_EEvlNS_24const_host_device_scalarIT5_EEPKT1_PKT2_PKT3_PT4_21rocsparse_index_base_b
                                        ; -- End function
	.section	.AMDGPU.csdata,"",@progbits
; Kernel info:
; codeLenInByte = 2068
; NumSgprs: 18
; NumVgprs: 18
; ScratchSize: 0
; MemoryBound: 0
; FloatMode: 240
; IeeeMode: 1
; LDSByteSize: 7168 bytes/workgroup (compile time only)
; SGPRBlocks: 2
; VGPRBlocks: 2
; NumSGPRsForWavesPerEU: 18
; NumVGPRsForWavesPerEU: 18
; Occupancy: 16
; WaveLimiterHint : 1
; COMPUTE_PGM_RSRC2:SCRATCH_EN: 0
; COMPUTE_PGM_RSRC2:USER_SGPR: 15
; COMPUTE_PGM_RSRC2:TRAP_HANDLER: 0
; COMPUTE_PGM_RSRC2:TGID_X_EN: 1
; COMPUTE_PGM_RSRC2:TGID_Y_EN: 0
; COMPUTE_PGM_RSRC2:TGID_Z_EN: 0
; COMPUTE_PGM_RSRC2:TIDIG_COMP_CNT: 2
	.section	.text._ZN9rocsparseL17coomvt_aos_kernelILj1024Ei21rocsparse_complex_numIfES1_IdES3_S3_EEv20rocsparse_operation_lNS_24const_host_device_scalarIT4_EEPKT0_PKT1_PKT2_PT3_21rocsparse_index_base_b,"axG",@progbits,_ZN9rocsparseL17coomvt_aos_kernelILj1024Ei21rocsparse_complex_numIfES1_IdES3_S3_EEv20rocsparse_operation_lNS_24const_host_device_scalarIT4_EEPKT0_PKT1_PKT2_PT3_21rocsparse_index_base_b,comdat
	.globl	_ZN9rocsparseL17coomvt_aos_kernelILj1024Ei21rocsparse_complex_numIfES1_IdES3_S3_EEv20rocsparse_operation_lNS_24const_host_device_scalarIT4_EEPKT0_PKT1_PKT2_PT3_21rocsparse_index_base_b ; -- Begin function _ZN9rocsparseL17coomvt_aos_kernelILj1024Ei21rocsparse_complex_numIfES1_IdES3_S3_EEv20rocsparse_operation_lNS_24const_host_device_scalarIT4_EEPKT0_PKT1_PKT2_PT3_21rocsparse_index_base_b
	.p2align	8
	.type	_ZN9rocsparseL17coomvt_aos_kernelILj1024Ei21rocsparse_complex_numIfES1_IdES3_S3_EEv20rocsparse_operation_lNS_24const_host_device_scalarIT4_EEPKT0_PKT1_PKT2_PT3_21rocsparse_index_base_b,@function
_ZN9rocsparseL17coomvt_aos_kernelILj1024Ei21rocsparse_complex_numIfES1_IdES3_S3_EEv20rocsparse_operation_lNS_24const_host_device_scalarIT4_EEPKT0_PKT1_PKT2_PT3_21rocsparse_index_base_b: ; @_ZN9rocsparseL17coomvt_aos_kernelILj1024Ei21rocsparse_complex_numIfES1_IdES3_S3_EEv20rocsparse_operation_lNS_24const_host_device_scalarIT4_EEPKT0_PKT1_PKT2_PT3_21rocsparse_index_base_b
; %bb.0:
	s_load_b64 s[0:1], s[0:1], 0x4
	s_clause 0x1
	s_load_b64 s[12:13], s[2:3], 0x40
	s_load_b128 s[4:7], s[2:3], 0x8
	v_bfe_u32 v3, v0, 10, 10
	s_waitcnt lgkmcnt(0)
	s_lshr_b32 s0, s0, 16
	s_and_b32 s8, 1, s13
	s_mul_i32 s0, s0, s1
	s_cmp_eq_u32 s8, 1
	s_load_b64 s[8:9], s[2:3], 0x18
	v_dual_mov_b32 v4, s6 :: v_dual_and_b32 v1, 0x3ff, v0
	v_bfe_u32 v0, v0, 20, 10
	s_cselect_b32 vcc_lo, -1, 0
	v_mov_b32_e32 v5, s7
	s_delay_alu instid0(VALU_DEP_3) | instskip(NEXT) | instid1(VALU_DEP_1)
	v_mul_lo_u32 v2, s0, v1
	v_mad_u32_u24 v2, v3, s1, v2
	s_mov_b64 s[0:1], src_shared_base
	s_delay_alu instid0(VALU_DEP_1) | instskip(SKIP_2) | instid1(VALU_DEP_2)
	v_add_lshl_u32 v0, v2, v0, 3
	s_waitcnt lgkmcnt(0)
	v_dual_mov_b32 v8, s8 :: v_dual_mov_b32 v9, s9
	v_cndmask_b32_e32 v2, s6, v0, vcc_lo
	s_and_b32 vcc_lo, vcc_lo, exec_lo
	s_cselect_b32 s0, s1, s7
	ds_store_b64 v0, v[4:5]
	v_mov_b32_e32 v3, s0
	flat_load_b64 v[4:5], v[2:3]
	s_cbranch_vccnz .LBB77_2
; %bb.1:
	v_dual_mov_b32 v2, s6 :: v_dual_mov_b32 v3, s7
	flat_load_b64 v[8:9], v[2:3] offset:8
.LBB77_2:
	s_waitcnt vmcnt(0) lgkmcnt(0)
	v_cmp_neq_f64_e32 vcc_lo, 0, v[4:5]
	v_cmp_neq_f64_e64 s0, 0, v[8:9]
	s_delay_alu instid0(VALU_DEP_1) | instskip(NEXT) | instid1(SALU_CYCLE_1)
	s_or_b32 s0, vcc_lo, s0
	s_and_saveexec_b32 s1, s0
	s_cbranch_execz .LBB77_8
; %bb.3:
	s_load_b32 s0, s[2:3], 0x54
	s_waitcnt lgkmcnt(0)
	s_and_b32 s0, s0, 0xffff
	s_delay_alu instid0(SALU_CYCLE_1) | instskip(SKIP_1) | instid1(VALU_DEP_1)
	v_mad_u64_u32 v[2:3], null, s15, s0, v[1:2]
	v_mov_b32_e32 v3, 0
	v_cmp_gt_i64_e32 vcc_lo, s[4:5], v[2:3]
	s_and_b32 exec_lo, exec_lo, vcc_lo
	s_cbranch_execz .LBB77_8
; %bb.4:
	s_load_b256 s[4:11], s[2:3], 0x20
	v_lshlrev_b64 v[0:1], 3, v[2:3]
	s_load_b32 s0, s[2:3], 0x0
	s_waitcnt lgkmcnt(0)
	s_delay_alu instid0(VALU_DEP_1) | instskip(NEXT) | instid1(VALU_DEP_2)
	v_add_co_u32 v2, vcc_lo, s4, v0
	v_add_co_ci_u32_e32 v3, vcc_lo, s5, v1, vcc_lo
	v_add_co_u32 v0, vcc_lo, s6, v0
	v_add_co_ci_u32_e32 v1, vcc_lo, s7, v1, vcc_lo
	global_load_b64 v[6:7], v[2:3], off
	s_cmpk_eq_i32 s0, 0x71
	global_load_b64 v[12:13], v[0:1], off
	s_cselect_b32 s0, -1, 0
	s_waitcnt vmcnt(1)
	v_subrev_nc_u32_e32 v0, s12, v6
	v_subrev_nc_u32_e32 v6, s12, v7
	s_waitcnt vmcnt(0)
	v_cndmask_b32_e64 v13, v13, -v13, s0
	v_cvt_f64_f32_e32 v[15:16], v12
	v_ashrrev_i32_e32 v1, 31, v0
	v_ashrrev_i32_e32 v7, 31, v6
	s_mov_b32 s0, 0
	v_cvt_f64_f32_e32 v[13:14], v13
	s_delay_alu instid0(VALU_DEP_3) | instskip(NEXT) | instid1(VALU_DEP_3)
	v_lshlrev_b64 v[0:1], 4, v[0:1]
	v_lshlrev_b64 v[6:7], 4, v[6:7]
	s_delay_alu instid0(VALU_DEP_2) | instskip(NEXT) | instid1(VALU_DEP_3)
	v_add_co_u32 v0, vcc_lo, s8, v0
	v_add_co_ci_u32_e32 v1, vcc_lo, s9, v1, vcc_lo
	s_delay_alu instid0(VALU_DEP_3) | instskip(NEXT) | instid1(VALU_DEP_4)
	v_add_co_u32 v10, vcc_lo, s10, v6
	v_add_co_ci_u32_e32 v11, vcc_lo, s11, v7, vcc_lo
	global_load_b128 v[0:3], v[0:1], off
	global_load_b64 v[6:7], v[10:11], off
	v_mul_f64 v[17:18], v[4:5], v[13:14]
	v_mul_f64 v[12:13], -v[8:9], v[13:14]
	s_delay_alu instid0(VALU_DEP_2) | instskip(NEXT) | instid1(VALU_DEP_2)
	v_fma_f64 v[8:9], v[8:9], v[15:16], v[17:18]
	v_fma_f64 v[12:13], v[4:5], v[15:16], v[12:13]
	s_waitcnt vmcnt(1)
	s_delay_alu instid0(VALU_DEP_2) | instskip(NEXT) | instid1(VALU_DEP_1)
	v_mul_f64 v[4:5], v[2:3], -v[8:9]
	v_fma_f64 v[14:15], v[12:13], v[0:1], v[4:5]
.LBB77_5:                               ; =>This Inner Loop Header: Depth=1
	s_waitcnt vmcnt(0)
	s_delay_alu instid0(VALU_DEP_1)
	v_add_f64 v[4:5], v[6:7], v[14:15]
	global_atomic_cmpswap_b64 v[4:5], v[10:11], v[4:7], off glc
	s_waitcnt vmcnt(0)
	v_cmp_eq_u64_e32 vcc_lo, v[4:5], v[6:7]
	v_dual_mov_b32 v7, v5 :: v_dual_mov_b32 v6, v4
	s_or_b32 s0, vcc_lo, s0
	s_delay_alu instid0(SALU_CYCLE_1)
	s_and_not1_b32 exec_lo, exec_lo, s0
	s_cbranch_execnz .LBB77_5
; %bb.6:
	s_or_b32 exec_lo, exec_lo, s0
	global_load_b64 v[4:5], v[10:11], off offset:8
	v_mul_f64 v[2:3], v[2:3], v[12:13]
	s_mov_b32 s0, 0
	s_delay_alu instid0(VALU_DEP_1)
	v_fma_f64 v[0:1], v[8:9], v[0:1], v[2:3]
.LBB77_7:                               ; =>This Inner Loop Header: Depth=1
	s_waitcnt vmcnt(0)
	s_delay_alu instid0(VALU_DEP_1)
	v_add_f64 v[2:3], v[4:5], v[0:1]
	global_atomic_cmpswap_b64 v[2:3], v[10:11], v[2:5], off offset:8 glc
	s_waitcnt vmcnt(0)
	v_cmp_eq_u64_e32 vcc_lo, v[2:3], v[4:5]
	v_dual_mov_b32 v5, v3 :: v_dual_mov_b32 v4, v2
	s_or_b32 s0, vcc_lo, s0
	s_delay_alu instid0(SALU_CYCLE_1)
	s_and_not1_b32 exec_lo, exec_lo, s0
	s_cbranch_execnz .LBB77_7
.LBB77_8:
	s_endpgm
	.section	.rodata,"a",@progbits
	.p2align	6, 0x0
	.amdhsa_kernel _ZN9rocsparseL17coomvt_aos_kernelILj1024Ei21rocsparse_complex_numIfES1_IdES3_S3_EEv20rocsparse_operation_lNS_24const_host_device_scalarIT4_EEPKT0_PKT1_PKT2_PT3_21rocsparse_index_base_b
		.amdhsa_group_segment_fixed_size 8192
		.amdhsa_private_segment_fixed_size 0
		.amdhsa_kernarg_size 328
		.amdhsa_user_sgpr_count 15
		.amdhsa_user_sgpr_dispatch_ptr 1
		.amdhsa_user_sgpr_queue_ptr 0
		.amdhsa_user_sgpr_kernarg_segment_ptr 1
		.amdhsa_user_sgpr_dispatch_id 0
		.amdhsa_user_sgpr_private_segment_size 0
		.amdhsa_wavefront_size32 1
		.amdhsa_uses_dynamic_stack 0
		.amdhsa_enable_private_segment 0
		.amdhsa_system_sgpr_workgroup_id_x 1
		.amdhsa_system_sgpr_workgroup_id_y 0
		.amdhsa_system_sgpr_workgroup_id_z 0
		.amdhsa_system_sgpr_workgroup_info 0
		.amdhsa_system_vgpr_workitem_id 2
		.amdhsa_next_free_vgpr 19
		.amdhsa_next_free_sgpr 16
		.amdhsa_reserve_vcc 1
		.amdhsa_float_round_mode_32 0
		.amdhsa_float_round_mode_16_64 0
		.amdhsa_float_denorm_mode_32 3
		.amdhsa_float_denorm_mode_16_64 3
		.amdhsa_dx10_clamp 1
		.amdhsa_ieee_mode 1
		.amdhsa_fp16_overflow 0
		.amdhsa_workgroup_processor_mode 1
		.amdhsa_memory_ordered 1
		.amdhsa_forward_progress 0
		.amdhsa_shared_vgpr_count 0
		.amdhsa_exception_fp_ieee_invalid_op 0
		.amdhsa_exception_fp_denorm_src 0
		.amdhsa_exception_fp_ieee_div_zero 0
		.amdhsa_exception_fp_ieee_overflow 0
		.amdhsa_exception_fp_ieee_underflow 0
		.amdhsa_exception_fp_ieee_inexact 0
		.amdhsa_exception_int_div_zero 0
	.end_amdhsa_kernel
	.section	.text._ZN9rocsparseL17coomvt_aos_kernelILj1024Ei21rocsparse_complex_numIfES1_IdES3_S3_EEv20rocsparse_operation_lNS_24const_host_device_scalarIT4_EEPKT0_PKT1_PKT2_PT3_21rocsparse_index_base_b,"axG",@progbits,_ZN9rocsparseL17coomvt_aos_kernelILj1024Ei21rocsparse_complex_numIfES1_IdES3_S3_EEv20rocsparse_operation_lNS_24const_host_device_scalarIT4_EEPKT0_PKT1_PKT2_PT3_21rocsparse_index_base_b,comdat
.Lfunc_end77:
	.size	_ZN9rocsparseL17coomvt_aos_kernelILj1024Ei21rocsparse_complex_numIfES1_IdES3_S3_EEv20rocsparse_operation_lNS_24const_host_device_scalarIT4_EEPKT0_PKT1_PKT2_PT3_21rocsparse_index_base_b, .Lfunc_end77-_ZN9rocsparseL17coomvt_aos_kernelILj1024Ei21rocsparse_complex_numIfES1_IdES3_S3_EEv20rocsparse_operation_lNS_24const_host_device_scalarIT4_EEPKT0_PKT1_PKT2_PT3_21rocsparse_index_base_b
                                        ; -- End function
	.section	.AMDGPU.csdata,"",@progbits
; Kernel info:
; codeLenInByte = 676
; NumSgprs: 18
; NumVgprs: 19
; ScratchSize: 0
; MemoryBound: 0
; FloatMode: 240
; IeeeMode: 1
; LDSByteSize: 8192 bytes/workgroup (compile time only)
; SGPRBlocks: 2
; VGPRBlocks: 2
; NumSGPRsForWavesPerEU: 18
; NumVGPRsForWavesPerEU: 19
; Occupancy: 16
; WaveLimiterHint : 1
; COMPUTE_PGM_RSRC2:SCRATCH_EN: 0
; COMPUTE_PGM_RSRC2:USER_SGPR: 15
; COMPUTE_PGM_RSRC2:TRAP_HANDLER: 0
; COMPUTE_PGM_RSRC2:TGID_X_EN: 1
; COMPUTE_PGM_RSRC2:TGID_Y_EN: 0
; COMPUTE_PGM_RSRC2:TGID_Z_EN: 0
; COMPUTE_PGM_RSRC2:TIDIG_COMP_CNT: 2
	.section	.text._ZN9rocsparseL26coomvn_aos_segmented_loopsILj256Ei21rocsparse_complex_numIfES1_IdES3_S3_EEvlT0_NS_24const_host_device_scalarIT4_EEPKS4_PKT1_PKT2_PT3_PS4_PS6_21rocsparse_index_base_b,"axG",@progbits,_ZN9rocsparseL26coomvn_aos_segmented_loopsILj256Ei21rocsparse_complex_numIfES1_IdES3_S3_EEvlT0_NS_24const_host_device_scalarIT4_EEPKS4_PKT1_PKT2_PT3_PS4_PS6_21rocsparse_index_base_b,comdat
	.globl	_ZN9rocsparseL26coomvn_aos_segmented_loopsILj256Ei21rocsparse_complex_numIfES1_IdES3_S3_EEvlT0_NS_24const_host_device_scalarIT4_EEPKS4_PKT1_PKT2_PT3_PS4_PS6_21rocsparse_index_base_b ; -- Begin function _ZN9rocsparseL26coomvn_aos_segmented_loopsILj256Ei21rocsparse_complex_numIfES1_IdES3_S3_EEvlT0_NS_24const_host_device_scalarIT4_EEPKS4_PKT1_PKT2_PT3_PS4_PS6_21rocsparse_index_base_b
	.p2align	8
	.type	_ZN9rocsparseL26coomvn_aos_segmented_loopsILj256Ei21rocsparse_complex_numIfES1_IdES3_S3_EEvlT0_NS_24const_host_device_scalarIT4_EEPKS4_PKT1_PKT2_PT3_PS4_PS6_21rocsparse_index_base_b,@function
_ZN9rocsparseL26coomvn_aos_segmented_loopsILj256Ei21rocsparse_complex_numIfES1_IdES3_S3_EEvlT0_NS_24const_host_device_scalarIT4_EEPKS4_PKT1_PKT2_PT3_PS4_PS6_21rocsparse_index_base_b: ; @_ZN9rocsparseL26coomvn_aos_segmented_loopsILj256Ei21rocsparse_complex_numIfES1_IdES3_S3_EEvlT0_NS_24const_host_device_scalarIT4_EEPKS4_PKT1_PKT2_PT3_PS4_PS6_21rocsparse_index_base_b
; %bb.0:
	s_load_b64 s[0:1], s[0:1], 0x4
	s_clause 0x1
	s_load_b64 s[22:23], s[2:3], 0x50
	s_load_b128 s[4:7], s[2:3], 0x10
	v_and_b32_e32 v16, 0x3ff, v0
	v_bfe_u32 v2, v0, 10, 10
	v_bfe_u32 v0, v0, 20, 10
	s_mov_b32 s20, s15
	s_waitcnt lgkmcnt(0)
	s_lshr_b32 s0, s0, 16
	v_mov_b32_e32 v6, s6
	s_mul_i32 s0, s0, s1
	v_mov_b32_e32 v7, s7
	v_mul_lo_u32 v1, s0, v16
	s_and_b32 s0, 1, s23
	s_delay_alu instid0(SALU_CYCLE_1) | instskip(SKIP_1) | instid1(VALU_DEP_1)
	s_cmp_eq_u32 s0, 1
	s_cselect_b32 vcc_lo, -1, 0
	v_mad_u32_u24 v1, v2, s1, v1
	s_mov_b64 s[0:1], src_shared_base
	v_dual_mov_b32 v2, s4 :: v_dual_mov_b32 v3, s5
	s_delay_alu instid0(VALU_DEP_2) | instskip(NEXT) | instid1(VALU_DEP_1)
	v_add_lshl_u32 v4, v1, v0, 3
	v_add_nc_u32_e32 v0, 0x1400, v4
	ds_store_b64 v4, v[2:3] offset:5120
	v_cndmask_b32_e32 v0, s4, v0, vcc_lo
	s_and_b32 vcc_lo, exec_lo, vcc_lo
	s_cselect_b32 s0, s1, s5
	s_delay_alu instid0(SALU_CYCLE_1)
	v_mov_b32_e32 v1, s0
	flat_load_b64 v[4:5], v[0:1]
	s_cbranch_vccnz .LBB78_2
; %bb.1:
	v_dual_mov_b32 v0, s4 :: v_dual_mov_b32 v1, s5
	flat_load_b64 v[6:7], v[0:1] offset:8
.LBB78_2:
	s_waitcnt vmcnt(0) lgkmcnt(0)
	v_cmp_neq_f64_e32 vcc_lo, 0, v[4:5]
	v_cmp_neq_f64_e64 s0, 0, v[6:7]
	s_delay_alu instid0(VALU_DEP_1) | instskip(NEXT) | instid1(SALU_CYCLE_1)
	s_or_b32 s0, vcc_lo, s0
	s_and_saveexec_b32 s1, s0
	s_cbranch_execz .LBB78_89
; %bb.3:
	s_clause 0x3
	s_load_b32 s21, s[2:3], 0x8
	s_load_b64 s[24:25], s[2:3], 0x0
	s_load_b128 s[16:19], s[2:3], 0x20
	s_load_b64 s[28:29], s[2:3], 0x30
	v_dual_mov_b32 v15, 0 :: v_dual_mov_b32 v0, 0
	v_dual_mov_b32 v1, 0 :: v_dual_mov_b32 v8, -1
	s_delay_alu instid0(VALU_DEP_1) | instskip(SKIP_2) | instid1(SALU_CYCLE_1)
	v_dual_mov_b32 v3, v1 :: v_dual_mov_b32 v2, v0
	s_waitcnt lgkmcnt(0)
	s_mul_i32 s0, s20, s21
	v_lshl_or_b32 v14, s0, 8, v16
	s_mov_b32 s0, exec_lo
	s_delay_alu instid0(VALU_DEP_1)
	v_lshlrev_b64 v[10:11], 3, v[14:15]
	v_cmpx_gt_i64_e64 s[24:25], v[14:15]
	s_cbranch_execz .LBB78_5
; %bb.4:
	s_delay_alu instid0(VALU_DEP_2) | instskip(NEXT) | instid1(VALU_DEP_3)
	v_add_co_u32 v0, vcc_lo, s16, v10
	v_add_co_ci_u32_e32 v1, vcc_lo, s17, v11, vcc_lo
	s_ashr_i32 s23, s22, 31
	s_delay_alu instid0(SALU_CYCLE_1)
	s_lshl_b64 s[4:5], s[22:23], 4
	global_load_b64 v[8:9], v[0:1], off slc dlc
	v_add_co_u32 v0, vcc_lo, s18, v10
	v_add_co_ci_u32_e32 v1, vcc_lo, s19, v11, vcc_lo
	global_load_b64 v[0:1], v[0:1], off slc dlc
	s_waitcnt vmcnt(1)
	v_ashrrev_i32_e32 v3, 31, v9
	v_mov_b32_e32 v2, v9
	v_subrev_nc_u32_e32 v8, s22, v8
	s_delay_alu instid0(VALU_DEP_2) | instskip(NEXT) | instid1(VALU_DEP_1)
	v_lshlrev_b64 v[2:3], 4, v[2:3]
	v_add_co_u32 v2, vcc_lo, s28, v2
	s_delay_alu instid0(VALU_DEP_2) | instskip(NEXT) | instid1(VALU_DEP_2)
	v_add_co_ci_u32_e32 v3, vcc_lo, s29, v3, vcc_lo
	v_sub_co_u32 v2, vcc_lo, v2, s4
	s_delay_alu instid0(VALU_DEP_2)
	v_subrev_co_ci_u32_e32 v3, vcc_lo, s5, v3, vcc_lo
	global_load_b128 v[17:20], v[2:3], off
	s_waitcnt vmcnt(1)
	v_cvt_f64_f32_e32 v[2:3], v1
	v_cvt_f64_f32_e32 v[0:1], v0
	s_waitcnt vmcnt(0)
	s_delay_alu instid0(VALU_DEP_2) | instskip(NEXT) | instid1(VALU_DEP_2)
	v_mul_f64 v[12:13], v[19:20], -v[2:3]
	v_mul_f64 v[19:20], v[19:20], v[0:1]
	s_delay_alu instid0(VALU_DEP_2) | instskip(NEXT) | instid1(VALU_DEP_2)
	v_fma_f64 v[0:1], v[0:1], v[17:18], v[12:13]
	v_fma_f64 v[2:3], v[2:3], v[17:18], v[19:20]
.LBB78_5:
	s_or_b32 exec_lo, exec_lo, s0
	v_lshlrev_b32_e32 v9, 2, v16
	v_lshlrev_b32_e32 v18, 4, v16
	v_cmp_eq_u32_e32 vcc_lo, 0, v16
	v_cmp_ne_u32_e64 s0, 0, v16
	ds_store_b32 v9, v8 offset:4096
	ds_store_b128 v18, v[0:3]
	v_or_b32_e32 v17, 0x1000, v9
	s_waitcnt lgkmcnt(0)
	s_barrier
	buffer_gl0_inv
	v_add_nc_u32_e32 v19, -4, v17
	s_and_saveexec_b32 s4, s0
	s_cbranch_execz .LBB78_9
; %bb.6:
	ds_load_b32 v9, v19
	s_mov_b32 s5, exec_lo
	s_waitcnt lgkmcnt(0)
	v_cmpx_eq_u32_e64 v8, v9
	s_cbranch_execz .LBB78_8
; %bb.7:
	v_add_nc_u32_e32 v9, -16, v18
	ds_load_b128 v[20:23], v9
	s_waitcnt lgkmcnt(0)
	v_add_f64 v[0:1], v[0:1], v[20:21]
	v_add_f64 v[2:3], v[2:3], v[22:23]
.LBB78_8:
	s_or_b32 exec_lo, exec_lo, s5
.LBB78_9:
	s_delay_alu instid0(SALU_CYCLE_1)
	s_or_b32 exec_lo, exec_lo, s4
	v_cmp_lt_u32_e64 s1, 1, v16
	v_add_nc_u32_e32 v20, -8, v17
	s_barrier
	buffer_gl0_inv
	ds_store_b128 v18, v[0:3]
	s_waitcnt lgkmcnt(0)
	s_barrier
	buffer_gl0_inv
	s_and_saveexec_b32 s5, s1
	s_cbranch_execz .LBB78_13
; %bb.10:
	ds_load_b32 v9, v20
	s_mov_b32 s6, exec_lo
	s_waitcnt lgkmcnt(0)
	v_cmpx_eq_u32_e64 v8, v9
	s_cbranch_execz .LBB78_12
; %bb.11:
	v_subrev_nc_u32_e32 v9, 32, v18
	ds_load_b128 v[21:24], v9
	s_waitcnt lgkmcnt(0)
	v_add_f64 v[0:1], v[0:1], v[21:22]
	v_add_f64 v[2:3], v[2:3], v[23:24]
.LBB78_12:
	s_or_b32 exec_lo, exec_lo, s6
.LBB78_13:
	s_delay_alu instid0(SALU_CYCLE_1)
	s_or_b32 exec_lo, exec_lo, s5
	v_cmp_lt_u32_e64 s4, 3, v16
	v_add_nc_u32_e32 v21, -16, v17
	s_barrier
	buffer_gl0_inv
	ds_store_b128 v18, v[0:3]
	s_waitcnt lgkmcnt(0)
	s_barrier
	buffer_gl0_inv
	s_and_saveexec_b32 s6, s4
	s_cbranch_execz .LBB78_17
; %bb.14:
	ds_load_b32 v9, v21
	s_mov_b32 s7, exec_lo
	s_waitcnt lgkmcnt(0)
	v_cmpx_eq_u32_e64 v8, v9
	s_cbranch_execz .LBB78_16
; %bb.15:
	v_subrev_nc_u32_e32 v9, 64, v18
	ds_load_b128 v[22:25], v9
	s_waitcnt lgkmcnt(0)
	v_add_f64 v[0:1], v[0:1], v[22:23]
	v_add_f64 v[2:3], v[2:3], v[24:25]
.LBB78_16:
	s_or_b32 exec_lo, exec_lo, s7
.LBB78_17:
	s_delay_alu instid0(SALU_CYCLE_1)
	s_or_b32 exec_lo, exec_lo, s6
	v_cmp_lt_u32_e64 s5, 7, v16
	v_subrev_nc_u32_e32 v22, 32, v17
	s_barrier
	buffer_gl0_inv
	ds_store_b128 v18, v[0:3]
	s_waitcnt lgkmcnt(0)
	s_barrier
	buffer_gl0_inv
	s_and_saveexec_b32 s7, s5
	s_cbranch_execz .LBB78_21
; %bb.18:
	ds_load_b32 v9, v22
	s_mov_b32 s8, exec_lo
	s_waitcnt lgkmcnt(0)
	v_cmpx_eq_u32_e64 v8, v9
	s_cbranch_execz .LBB78_20
; %bb.19:
	v_add_nc_u32_e32 v9, 0xffffff80, v18
	ds_load_b128 v[23:26], v9
	s_waitcnt lgkmcnt(0)
	v_add_f64 v[0:1], v[0:1], v[23:24]
	v_add_f64 v[2:3], v[2:3], v[25:26]
.LBB78_20:
	s_or_b32 exec_lo, exec_lo, s8
.LBB78_21:
	s_delay_alu instid0(SALU_CYCLE_1)
	s_or_b32 exec_lo, exec_lo, s7
	v_cmp_lt_u32_e64 s6, 15, v16
	v_subrev_nc_u32_e32 v23, 64, v17
	s_barrier
	buffer_gl0_inv
	ds_store_b128 v18, v[0:3]
	s_waitcnt lgkmcnt(0)
	s_barrier
	buffer_gl0_inv
	s_and_saveexec_b32 s8, s6
	s_cbranch_execz .LBB78_25
; %bb.22:
	ds_load_b32 v9, v23
	s_mov_b32 s9, exec_lo
	s_waitcnt lgkmcnt(0)
	v_cmpx_eq_u32_e64 v8, v9
	s_cbranch_execz .LBB78_24
; %bb.23:
	v_add_nc_u32_e32 v9, 0xffffff00, v18
	ds_load_b128 v[24:27], v9
	s_waitcnt lgkmcnt(0)
	v_add_f64 v[0:1], v[0:1], v[24:25]
	v_add_f64 v[2:3], v[2:3], v[26:27]
.LBB78_24:
	s_or_b32 exec_lo, exec_lo, s9
.LBB78_25:
	s_delay_alu instid0(SALU_CYCLE_1)
	s_or_b32 exec_lo, exec_lo, s8
	v_cmp_lt_u32_e64 s7, 31, v16
	v_add_nc_u32_e32 v24, 0xffffff80, v17
	s_barrier
	buffer_gl0_inv
	ds_store_b128 v18, v[0:3]
	s_waitcnt lgkmcnt(0)
	s_barrier
	buffer_gl0_inv
	s_and_saveexec_b32 s9, s7
	s_cbranch_execz .LBB78_29
; %bb.26:
	ds_load_b32 v9, v24
	s_mov_b32 s10, exec_lo
	s_waitcnt lgkmcnt(0)
	v_cmpx_eq_u32_e64 v8, v9
	s_cbranch_execz .LBB78_28
; %bb.27:
	v_add_nc_u32_e32 v9, 0xfffffe00, v18
	ds_load_b128 v[25:28], v9
	s_waitcnt lgkmcnt(0)
	v_add_f64 v[0:1], v[0:1], v[25:26]
	v_add_f64 v[2:3], v[2:3], v[27:28]
.LBB78_28:
	s_or_b32 exec_lo, exec_lo, s10
.LBB78_29:
	s_delay_alu instid0(SALU_CYCLE_1)
	s_or_b32 exec_lo, exec_lo, s9
	v_cmp_lt_u32_e64 s8, 63, v16
	v_add_nc_u32_e32 v25, 0xffffff00, v17
	s_barrier
	buffer_gl0_inv
	ds_store_b128 v18, v[0:3]
	s_waitcnt lgkmcnt(0)
	s_barrier
	buffer_gl0_inv
	s_and_saveexec_b32 s10, s8
	s_cbranch_execz .LBB78_33
; %bb.30:
	ds_load_b32 v9, v25
	s_mov_b32 s11, exec_lo
	s_waitcnt lgkmcnt(0)
	v_cmpx_eq_u32_e64 v8, v9
	s_cbranch_execz .LBB78_32
; %bb.31:
	v_add_nc_u32_e32 v9, 0xfffffc00, v18
	ds_load_b128 v[26:29], v9
	s_waitcnt lgkmcnt(0)
	v_add_f64 v[0:1], v[0:1], v[26:27]
	v_add_f64 v[2:3], v[2:3], v[28:29]
.LBB78_32:
	s_or_b32 exec_lo, exec_lo, s11
.LBB78_33:
	s_delay_alu instid0(SALU_CYCLE_1)
	s_or_b32 exec_lo, exec_lo, s10
	s_load_b64 s[26:27], s[2:3], 0x38
	v_cmp_lt_u32_e64 s9, 0x7f, v16
	v_add_nc_u32_e32 v26, 0xfffffe00, v17
	s_waitcnt lgkmcnt(0)
	s_barrier
	buffer_gl0_inv
	ds_store_b128 v18, v[0:3]
	s_waitcnt lgkmcnt(0)
	s_barrier
	buffer_gl0_inv
	s_and_saveexec_b32 s11, s9
	s_cbranch_execz .LBB78_37
; %bb.34:
	ds_load_b32 v9, v26
	s_mov_b32 s12, exec_lo
	s_waitcnt lgkmcnt(0)
	v_cmpx_eq_u32_e64 v8, v9
	s_cbranch_execz .LBB78_36
; %bb.35:
	v_add_nc_u32_e32 v9, 0xfffff800, v18
	ds_load_b128 v[27:30], v9
	s_waitcnt lgkmcnt(0)
	v_add_f64 v[0:1], v[0:1], v[27:28]
	v_add_f64 v[2:3], v[2:3], v[29:30]
.LBB78_36:
	s_or_b32 exec_lo, exec_lo, s12
.LBB78_37:
	s_delay_alu instid0(SALU_CYCLE_1)
	s_or_b32 exec_lo, exec_lo, s11
	v_cmp_gt_u32_e64 s10, 0xff, v16
	s_barrier
	buffer_gl0_inv
	ds_store_b128 v18, v[0:3]
	s_waitcnt lgkmcnt(0)
	s_barrier
	buffer_gl0_inv
	s_and_saveexec_b32 s13, s10
	s_cbranch_execz .LBB78_40
; %bb.38:
	ds_load_b32 v9, v17 offset:4
	v_cmp_lt_i32_e64 s12, -1, v8
	s_waitcnt lgkmcnt(0)
	v_cmp_ne_u32_e64 s11, v8, v9
	s_delay_alu instid0(VALU_DEP_1) | instskip(NEXT) | instid1(SALU_CYCLE_1)
	s_and_b32 s11, s12, s11
	s_and_b32 exec_lo, exec_lo, s11
	s_cbranch_execz .LBB78_40
; %bb.39:
	v_mov_b32_e32 v9, 0
	s_delay_alu instid0(VALU_DEP_1) | instskip(NEXT) | instid1(VALU_DEP_1)
	v_lshlrev_b64 v[12:13], 4, v[8:9]
	v_add_co_u32 v12, s11, s26, v12
	s_delay_alu instid0(VALU_DEP_1) | instskip(SKIP_4) | instid1(VALU_DEP_2)
	v_add_co_ci_u32_e64 v13, s11, s27, v13, s11
	global_load_b128 v[27:30], v[12:13], off
	s_waitcnt vmcnt(0)
	v_fma_f64 v[27:28], v[4:5], v[0:1], v[27:28]
	v_fma_f64 v[29:30], v[6:7], v[0:1], v[29:30]
	v_fma_f64 v[27:28], -v[6:7], v[2:3], v[27:28]
	s_delay_alu instid0(VALU_DEP_2)
	v_fma_f64 v[29:30], v[4:5], v[2:3], v[29:30]
	global_store_b128 v[12:13], v[27:30], off
.LBB78_40:
	s_or_b32 exec_lo, exec_lo, s13
	s_load_b128 s[12:15], s[2:3], 0x40
	s_cmp_lt_i32 s21, 2
	s_cbranch_scc1 .LBB78_87
; %bb.41:
	s_ashr_i32 s23, s22, 31
	v_add_nc_u32_e32 v27, -16, v18
	s_lshl_b64 s[2:3], s[22:23], 4
	v_subrev_nc_u32_e32 v28, 32, v18
	s_sub_u32 s11, s28, s2
	v_add_co_u32 v0, s2, 0x800, v10
	s_delay_alu instid0(VALU_DEP_1) | instskip(SKIP_1) | instid1(VALU_DEP_3)
	v_add_co_ci_u32_e64 v1, s2, 0, v11, s2
	v_subrev_nc_u32_e32 v29, 64, v18
	v_add_co_u32 v10, s2, s18, v0
	s_delay_alu instid0(VALU_DEP_1) | instskip(SKIP_1) | instid1(VALU_DEP_1)
	v_add_co_ci_u32_e64 v11, s2, s19, v1, s2
	v_add_co_u32 v12, s2, s16, v0
	v_add_co_ci_u32_e64 v13, s2, s17, v1, s2
	v_add_co_u32 v14, s2, 0x100, v14
	v_dual_mov_b32 v9, 0 :: v_dual_add_nc_u32 v30, 0xffffff80, v18
	v_add_nc_u32_e32 v31, 0xffffff00, v18
	v_add_nc_u32_e32 v32, 0xfffffe00, v18
	;; [unrolled: 1-line block ×4, first 2 shown]
	v_add_co_ci_u32_e64 v15, null, 0, 0, s2
	s_subb_u32 s18, s29, s3
	s_add_i32 s19, s21, -1
	s_mov_b32 s17, 0
	s_branch .LBB78_43
.LBB78_42:                              ;   in Loop: Header=BB78_43 Depth=1
	s_or_b32 exec_lo, exec_lo, s16
	v_add_co_u32 v10, s2, 0x800, v10
	s_delay_alu instid0(VALU_DEP_1) | instskip(SKIP_1) | instid1(VALU_DEP_1)
	v_add_co_ci_u32_e64 v11, s2, 0, v11, s2
	v_add_co_u32 v12, s2, 0x800, v12
	v_add_co_ci_u32_e64 v13, s2, 0, v13, s2
	v_add_co_u32 v14, s2, 0x100, v14
	s_delay_alu instid0(VALU_DEP_1) | instskip(SKIP_1) | instid1(SALU_CYCLE_1)
	v_add_co_ci_u32_e64 v15, s2, 0, v15, s2
	s_add_i32 s19, s19, -1
	s_cmp_eq_u32 s19, 0
	s_cbranch_scc1 .LBB78_87
.LBB78_43:                              ; =>This Inner Loop Header: Depth=1
	v_mov_b32_e32 v0, 0
	v_dual_mov_b32 v1, 0 :: v_dual_mov_b32 v8, -1
	s_mov_b32 s3, exec_lo
	s_delay_alu instid0(VALU_DEP_1)
	v_dual_mov_b32 v3, v1 :: v_dual_mov_b32 v2, v0
	v_cmpx_gt_i64_e64 s[24:25], v[14:15]
	s_cbranch_execz .LBB78_45
; %bb.44:                               ;   in Loop: Header=BB78_43 Depth=1
	global_load_b64 v[39:40], v[12:13], off slc dlc
	global_load_b64 v[0:1], v[10:11], off slc dlc
	s_waitcnt vmcnt(1)
	v_ashrrev_i32_e32 v3, 31, v40
	v_mov_b32_e32 v2, v40
	v_subrev_nc_u32_e32 v8, s22, v39
	s_delay_alu instid0(VALU_DEP_2) | instskip(NEXT) | instid1(VALU_DEP_1)
	v_lshlrev_b64 v[2:3], 4, v[2:3]
	v_add_co_u32 v2, s2, s11, v2
	s_delay_alu instid0(VALU_DEP_1)
	v_add_co_ci_u32_e64 v3, s2, s18, v3, s2
	global_load_b128 v[35:38], v[2:3], off
	s_waitcnt vmcnt(1)
	v_cvt_f64_f32_e32 v[2:3], v1
	v_cvt_f64_f32_e32 v[0:1], v0
	s_waitcnt vmcnt(0)
	s_delay_alu instid0(VALU_DEP_2) | instskip(NEXT) | instid1(VALU_DEP_2)
	v_mul_f64 v[40:41], v[37:38], -v[2:3]
	v_mul_f64 v[37:38], v[37:38], v[0:1]
	s_delay_alu instid0(VALU_DEP_2) | instskip(NEXT) | instid1(VALU_DEP_2)
	v_fma_f64 v[0:1], v[0:1], v[35:36], v[40:41]
	v_fma_f64 v[2:3], v[2:3], v[35:36], v[37:38]
.LBB78_45:                              ;   in Loop: Header=BB78_43 Depth=1
	s_or_b32 exec_lo, exec_lo, s3
	s_and_saveexec_b32 s3, vcc_lo
	s_cbranch_execz .LBB78_52
; %bb.46:                               ;   in Loop: Header=BB78_43 Depth=1
	ds_load_b32 v35, v9 offset:5116
	s_waitcnt lgkmcnt(0)
	v_readfirstlane_b32 s16, v35
	v_cmp_ne_u32_e64 s2, v8, v35
	s_delay_alu instid0(VALU_DEP_1) | instskip(NEXT) | instid1(SALU_CYCLE_1)
	s_and_saveexec_b32 s21, s2
	s_xor_b32 s2, exec_lo, s21
	s_cbranch_execz .LBB78_49
; %bb.47:                               ;   in Loop: Header=BB78_43 Depth=1
	s_cmp_lt_i32 s16, 0
	s_cbranch_scc1 .LBB78_49
; %bb.48:                               ;   in Loop: Header=BB78_43 Depth=1
	s_lshl_b64 s[28:29], s[16:17], 4
	ds_load_b128 v[39:42], v9 offset:4080
	s_add_u32 s28, s26, s28
	s_addc_u32 s29, s27, s29
	global_load_b128 v[35:38], v9, s[28:29]
	s_waitcnt vmcnt(0) lgkmcnt(0)
	v_fma_f64 v[35:36], v[4:5], v[39:40], v[35:36]
	v_fma_f64 v[37:38], v[6:7], v[39:40], v[37:38]
	s_delay_alu instid0(VALU_DEP_2) | instskip(NEXT) | instid1(VALU_DEP_2)
	v_fma_f64 v[35:36], -v[6:7], v[41:42], v[35:36]
	v_fma_f64 v[37:38], v[4:5], v[41:42], v[37:38]
	global_store_b128 v9, v[35:38], s[28:29]
.LBB78_49:                              ;   in Loop: Header=BB78_43 Depth=1
	s_and_not1_saveexec_b32 s2, s2
	s_cbranch_execz .LBB78_51
; %bb.50:                               ;   in Loop: Header=BB78_43 Depth=1
	ds_load_b128 v[35:38], v9 offset:4080
	s_waitcnt lgkmcnt(0)
	v_add_f64 v[0:1], v[0:1], v[35:36]
	v_add_f64 v[2:3], v[2:3], v[37:38]
.LBB78_51:                              ;   in Loop: Header=BB78_43 Depth=1
	s_or_b32 exec_lo, exec_lo, s2
.LBB78_52:                              ;   in Loop: Header=BB78_43 Depth=1
	s_delay_alu instid0(SALU_CYCLE_1)
	s_or_b32 exec_lo, exec_lo, s3
	s_waitcnt lgkmcnt(0)
	s_waitcnt_vscnt null, 0x0
	s_barrier
	buffer_gl0_inv
	ds_store_b32 v17, v8
	ds_store_b128 v18, v[0:3]
	s_waitcnt lgkmcnt(0)
	s_barrier
	buffer_gl0_inv
	s_and_saveexec_b32 s3, s0
	s_cbranch_execz .LBB78_56
; %bb.53:                               ;   in Loop: Header=BB78_43 Depth=1
	ds_load_b32 v35, v19
	s_mov_b32 s16, exec_lo
	s_waitcnt lgkmcnt(0)
	v_cmpx_eq_u32_e64 v8, v35
	s_cbranch_execz .LBB78_55
; %bb.54:                               ;   in Loop: Header=BB78_43 Depth=1
	ds_load_b128 v[35:38], v27
	s_waitcnt lgkmcnt(0)
	v_add_f64 v[0:1], v[0:1], v[35:36]
	v_add_f64 v[2:3], v[2:3], v[37:38]
.LBB78_55:                              ;   in Loop: Header=BB78_43 Depth=1
	s_or_b32 exec_lo, exec_lo, s16
.LBB78_56:                              ;   in Loop: Header=BB78_43 Depth=1
	s_delay_alu instid0(SALU_CYCLE_1)
	s_or_b32 exec_lo, exec_lo, s3
	s_barrier
	buffer_gl0_inv
	ds_store_b128 v18, v[0:3]
	s_waitcnt lgkmcnt(0)
	s_barrier
	buffer_gl0_inv
	s_and_saveexec_b32 s3, s1
	s_cbranch_execz .LBB78_60
; %bb.57:                               ;   in Loop: Header=BB78_43 Depth=1
	ds_load_b32 v35, v20
	s_mov_b32 s16, exec_lo
	s_waitcnt lgkmcnt(0)
	v_cmpx_eq_u32_e64 v8, v35
	s_cbranch_execz .LBB78_59
; %bb.58:                               ;   in Loop: Header=BB78_43 Depth=1
	ds_load_b128 v[35:38], v28
	s_waitcnt lgkmcnt(0)
	v_add_f64 v[0:1], v[0:1], v[35:36]
	v_add_f64 v[2:3], v[2:3], v[37:38]
.LBB78_59:                              ;   in Loop: Header=BB78_43 Depth=1
	s_or_b32 exec_lo, exec_lo, s16
.LBB78_60:                              ;   in Loop: Header=BB78_43 Depth=1
	s_delay_alu instid0(SALU_CYCLE_1)
	s_or_b32 exec_lo, exec_lo, s3
	s_barrier
	buffer_gl0_inv
	;; [unrolled: 24-line block ×8, first 2 shown]
	ds_store_b128 v18, v[0:3]
	s_waitcnt lgkmcnt(0)
	s_barrier
	buffer_gl0_inv
	s_and_saveexec_b32 s16, s10
	s_cbranch_execz .LBB78_42
; %bb.85:                               ;   in Loop: Header=BB78_43 Depth=1
	ds_load_b32 v35, v17 offset:4
	v_cmp_lt_i32_e64 s3, -1, v8
	s_waitcnt lgkmcnt(0)
	v_cmp_ne_u32_e64 s2, v8, v35
	s_delay_alu instid0(VALU_DEP_1) | instskip(NEXT) | instid1(SALU_CYCLE_1)
	s_and_b32 s2, s3, s2
	s_and_b32 exec_lo, exec_lo, s2
	s_cbranch_execz .LBB78_42
; %bb.86:                               ;   in Loop: Header=BB78_43 Depth=1
	v_lshlrev_b64 v[35:36], 4, v[8:9]
	s_delay_alu instid0(VALU_DEP_1) | instskip(NEXT) | instid1(VALU_DEP_1)
	v_add_co_u32 v39, s2, s26, v35
	v_add_co_ci_u32_e64 v40, s2, s27, v36, s2
	global_load_b128 v[35:38], v[39:40], off
	s_waitcnt vmcnt(0)
	v_fma_f64 v[35:36], v[4:5], v[0:1], v[35:36]
	v_fma_f64 v[37:38], v[6:7], v[0:1], v[37:38]
	s_delay_alu instid0(VALU_DEP_2) | instskip(NEXT) | instid1(VALU_DEP_2)
	v_fma_f64 v[35:36], -v[6:7], v[2:3], v[35:36]
	v_fma_f64 v[37:38], v[4:5], v[2:3], v[37:38]
	global_store_b128 v[39:40], v[35:38], off
	s_branch .LBB78_42
.LBB78_87:
	v_cmp_eq_u32_e32 vcc_lo, 0xff, v16
	s_and_b32 exec_lo, exec_lo, vcc_lo
	s_cbranch_execz .LBB78_89
; %bb.88:
	v_mul_f64 v[9:10], v[2:3], -v[6:7]
	v_mul_f64 v[11:12], v[4:5], v[2:3]
	s_mov_b32 s21, 0
	s_delay_alu instid0(SALU_CYCLE_1) | instskip(SKIP_4) | instid1(SALU_CYCLE_1)
	s_lshl_b64 s[0:1], s[20:21], 2
	s_waitcnt lgkmcnt(0)
	s_add_u32 s0, s12, s0
	s_addc_u32 s1, s13, s1
	s_lshl_b64 s[2:3], s[20:21], 4
	s_add_u32 s2, s14, s2
	s_addc_u32 s3, s15, s3
	s_delay_alu instid0(VALU_DEP_2) | instskip(NEXT) | instid1(VALU_DEP_2)
	v_fma_f64 v[2:3], v[4:5], v[0:1], v[9:10]
	v_fma_f64 v[4:5], v[6:7], v[0:1], v[11:12]
	v_mov_b32_e32 v0, 0
	s_clause 0x1
	global_store_b32 v0, v8, s[0:1] glc slc dlc
	global_store_b128 v0, v[2:5], s[2:3] glc slc dlc
.LBB78_89:
	s_nop 0
	s_sendmsg sendmsg(MSG_DEALLOC_VGPRS)
	s_endpgm
	.section	.rodata,"a",@progbits
	.p2align	6, 0x0
	.amdhsa_kernel _ZN9rocsparseL26coomvn_aos_segmented_loopsILj256Ei21rocsparse_complex_numIfES1_IdES3_S3_EEvlT0_NS_24const_host_device_scalarIT4_EEPKS4_PKT1_PKT2_PT3_PS4_PS6_21rocsparse_index_base_b
		.amdhsa_group_segment_fixed_size 7168
		.amdhsa_private_segment_fixed_size 0
		.amdhsa_kernarg_size 88
		.amdhsa_user_sgpr_count 15
		.amdhsa_user_sgpr_dispatch_ptr 1
		.amdhsa_user_sgpr_queue_ptr 0
		.amdhsa_user_sgpr_kernarg_segment_ptr 1
		.amdhsa_user_sgpr_dispatch_id 0
		.amdhsa_user_sgpr_private_segment_size 0
		.amdhsa_wavefront_size32 1
		.amdhsa_uses_dynamic_stack 0
		.amdhsa_enable_private_segment 0
		.amdhsa_system_sgpr_workgroup_id_x 1
		.amdhsa_system_sgpr_workgroup_id_y 0
		.amdhsa_system_sgpr_workgroup_id_z 0
		.amdhsa_system_sgpr_workgroup_info 0
		.amdhsa_system_vgpr_workitem_id 2
		.amdhsa_next_free_vgpr 43
		.amdhsa_next_free_sgpr 30
		.amdhsa_reserve_vcc 1
		.amdhsa_float_round_mode_32 0
		.amdhsa_float_round_mode_16_64 0
		.amdhsa_float_denorm_mode_32 3
		.amdhsa_float_denorm_mode_16_64 3
		.amdhsa_dx10_clamp 1
		.amdhsa_ieee_mode 1
		.amdhsa_fp16_overflow 0
		.amdhsa_workgroup_processor_mode 1
		.amdhsa_memory_ordered 1
		.amdhsa_forward_progress 0
		.amdhsa_shared_vgpr_count 0
		.amdhsa_exception_fp_ieee_invalid_op 0
		.amdhsa_exception_fp_denorm_src 0
		.amdhsa_exception_fp_ieee_div_zero 0
		.amdhsa_exception_fp_ieee_overflow 0
		.amdhsa_exception_fp_ieee_underflow 0
		.amdhsa_exception_fp_ieee_inexact 0
		.amdhsa_exception_int_div_zero 0
	.end_amdhsa_kernel
	.section	.text._ZN9rocsparseL26coomvn_aos_segmented_loopsILj256Ei21rocsparse_complex_numIfES1_IdES3_S3_EEvlT0_NS_24const_host_device_scalarIT4_EEPKS4_PKT1_PKT2_PT3_PS4_PS6_21rocsparse_index_base_b,"axG",@progbits,_ZN9rocsparseL26coomvn_aos_segmented_loopsILj256Ei21rocsparse_complex_numIfES1_IdES3_S3_EEvlT0_NS_24const_host_device_scalarIT4_EEPKS4_PKT1_PKT2_PT3_PS4_PS6_21rocsparse_index_base_b,comdat
.Lfunc_end78:
	.size	_ZN9rocsparseL26coomvn_aos_segmented_loopsILj256Ei21rocsparse_complex_numIfES1_IdES3_S3_EEvlT0_NS_24const_host_device_scalarIT4_EEPKS4_PKT1_PKT2_PT3_PS4_PS6_21rocsparse_index_base_b, .Lfunc_end78-_ZN9rocsparseL26coomvn_aos_segmented_loopsILj256Ei21rocsparse_complex_numIfES1_IdES3_S3_EEvlT0_NS_24const_host_device_scalarIT4_EEPKS4_PKT1_PKT2_PT3_PS4_PS6_21rocsparse_index_base_b
                                        ; -- End function
	.section	.AMDGPU.csdata,"",@progbits
; Kernel info:
; codeLenInByte = 3632
; NumSgprs: 32
; NumVgprs: 43
; ScratchSize: 0
; MemoryBound: 0
; FloatMode: 240
; IeeeMode: 1
; LDSByteSize: 7168 bytes/workgroup (compile time only)
; SGPRBlocks: 3
; VGPRBlocks: 5
; NumSGPRsForWavesPerEU: 32
; NumVGPRsForWavesPerEU: 43
; Occupancy: 16
; WaveLimiterHint : 1
; COMPUTE_PGM_RSRC2:SCRATCH_EN: 0
; COMPUTE_PGM_RSRC2:USER_SGPR: 15
; COMPUTE_PGM_RSRC2:TRAP_HANDLER: 0
; COMPUTE_PGM_RSRC2:TGID_X_EN: 1
; COMPUTE_PGM_RSRC2:TGID_Y_EN: 0
; COMPUTE_PGM_RSRC2:TGID_Z_EN: 0
; COMPUTE_PGM_RSRC2:TIDIG_COMP_CNT: 2
	.section	.text._ZN9rocsparseL23coomvn_aos_atomic_loopsILj256ELj1El21rocsparse_complex_numIfES1_IdES3_S3_EEvlNS_24const_host_device_scalarIT5_EEPKT1_PKT2_PKT3_PT4_21rocsparse_index_base_b,"axG",@progbits,_ZN9rocsparseL23coomvn_aos_atomic_loopsILj256ELj1El21rocsparse_complex_numIfES1_IdES3_S3_EEvlNS_24const_host_device_scalarIT5_EEPKT1_PKT2_PKT3_PT4_21rocsparse_index_base_b,comdat
	.globl	_ZN9rocsparseL23coomvn_aos_atomic_loopsILj256ELj1El21rocsparse_complex_numIfES1_IdES3_S3_EEvlNS_24const_host_device_scalarIT5_EEPKT1_PKT2_PKT3_PT4_21rocsparse_index_base_b ; -- Begin function _ZN9rocsparseL23coomvn_aos_atomic_loopsILj256ELj1El21rocsparse_complex_numIfES1_IdES3_S3_EEvlNS_24const_host_device_scalarIT5_EEPKT1_PKT2_PKT3_PT4_21rocsparse_index_base_b
	.p2align	8
	.type	_ZN9rocsparseL23coomvn_aos_atomic_loopsILj256ELj1El21rocsparse_complex_numIfES1_IdES3_S3_EEvlNS_24const_host_device_scalarIT5_EEPKT1_PKT2_PKT3_PT4_21rocsparse_index_base_b,@function
_ZN9rocsparseL23coomvn_aos_atomic_loopsILj256ELj1El21rocsparse_complex_numIfES1_IdES3_S3_EEvlNS_24const_host_device_scalarIT5_EEPKT1_PKT2_PKT3_PT4_21rocsparse_index_base_b: ; @_ZN9rocsparseL23coomvn_aos_atomic_loopsILj256ELj1El21rocsparse_complex_numIfES1_IdES3_S3_EEvlNS_24const_host_device_scalarIT5_EEPKT1_PKT2_PKT3_PT4_21rocsparse_index_base_b
; %bb.0:
	s_load_b64 s[0:1], s[0:1], 0x4
	s_clause 0x1
	s_load_b128 s[4:7], s[2:3], 0x0
	s_load_b64 s[10:11], s[2:3], 0x10
	v_and_b32_e32 v18, 0x3ff, v0
	s_load_b64 s[8:9], s[2:3], 0x38
	v_bfe_u32 v2, v0, 10, 10
	v_bfe_u32 v0, v0, 20, 10
	s_waitcnt lgkmcnt(0)
	s_lshr_b32 s0, s0, 16
	v_mov_b32_e32 v10, s10
	s_mul_i32 s0, s0, s1
	s_and_b32 s9, 1, s9
	v_mul_lo_u32 v1, s0, v18
	s_cmp_eq_u32 s9, 1
	v_mov_b32_e32 v11, s11
	s_cselect_b32 vcc_lo, -1, 0
	s_delay_alu instid0(VALU_DEP_2) | instskip(SKIP_2) | instid1(VALU_DEP_2)
	v_mad_u32_u24 v1, v2, s1, v1
	s_mov_b64 s[0:1], src_shared_base
	v_dual_mov_b32 v2, s6 :: v_dual_mov_b32 v3, s7
	v_add_lshl_u32 v4, v1, v0, 3
	s_delay_alu instid0(VALU_DEP_1) | instskip(SKIP_4) | instid1(SALU_CYCLE_1)
	v_add_nc_u32_e32 v0, 0x1800, v4
	ds_store_b64 v4, v[2:3] offset:6144
	v_cndmask_b32_e32 v0, s6, v0, vcc_lo
	s_and_b32 vcc_lo, exec_lo, vcc_lo
	s_cselect_b32 s0, s1, s7
	v_mov_b32_e32 v1, s0
	flat_load_b64 v[8:9], v[0:1]
	s_cbranch_vccnz .LBB79_2
; %bb.1:
	v_dual_mov_b32 v0, s6 :: v_dual_mov_b32 v1, s7
	flat_load_b64 v[10:11], v[0:1] offset:8
.LBB79_2:
	s_waitcnt vmcnt(0) lgkmcnt(0)
	v_cmp_neq_f64_e32 vcc_lo, 0, v[8:9]
	v_cmp_neq_f64_e64 s0, 0, v[10:11]
	s_delay_alu instid0(VALU_DEP_1) | instskip(NEXT) | instid1(SALU_CYCLE_1)
	s_or_b32 s0, vcc_lo, s0
	s_and_saveexec_b32 s1, s0
	s_cbranch_execz .LBB79_48
; %bb.3:
	v_dual_mov_b32 v5, 0 :: v_dual_mov_b32 v0, 0
	v_dual_mov_b32 v1, 0 :: v_dual_mov_b32 v12, -1
	v_lshl_or_b32 v4, s15, 8, v18
	v_mov_b32_e32 v13, -1
	s_mov_b32 s0, exec_lo
	s_delay_alu instid0(VALU_DEP_3) | instskip(NEXT) | instid1(VALU_DEP_3)
	v_dual_mov_b32 v3, v1 :: v_dual_mov_b32 v2, v0
	v_cmpx_gt_i64_e64 s[4:5], v[4:5]
	s_cbranch_execz .LBB79_5
; %bb.4:
	s_clause 0x1
	s_load_b128 s[4:7], s[2:3], 0x18
	s_load_b64 s[10:11], s[2:3], 0x28
	v_lshlrev_b64 v[0:1], 4, v[4:5]
	s_waitcnt lgkmcnt(0)
	s_delay_alu instid0(VALU_DEP_1) | instskip(NEXT) | instid1(VALU_DEP_2)
	v_add_co_u32 v0, vcc_lo, s4, v0
	v_add_co_ci_u32_e32 v1, vcc_lo, s5, v1, vcc_lo
	global_load_b128 v[12:15], v[0:1], off slc dlc
	v_lshlrev_b64 v[0:1], 3, v[4:5]
	s_delay_alu instid0(VALU_DEP_1) | instskip(NEXT) | instid1(VALU_DEP_2)
	v_add_co_u32 v0, vcc_lo, s6, v0
	v_add_co_ci_u32_e32 v1, vcc_lo, s7, v1, vcc_lo
	global_load_b64 v[0:1], v[0:1], off slc dlc
	s_waitcnt vmcnt(1)
	v_sub_co_u32 v2, vcc_lo, v14, s8
	v_subrev_co_ci_u32_e32 v3, vcc_lo, 0, v15, vcc_lo
	s_delay_alu instid0(VALU_DEP_1) | instskip(NEXT) | instid1(VALU_DEP_1)
	v_lshlrev_b64 v[2:3], 4, v[2:3]
	v_add_co_u32 v2, vcc_lo, s10, v2
	s_delay_alu instid0(VALU_DEP_2)
	v_add_co_ci_u32_e32 v3, vcc_lo, s11, v3, vcc_lo
	s_waitcnt vmcnt(0)
	v_cvt_f64_f32_e32 v[6:7], v1
	v_cvt_f64_f32_e32 v[0:1], v0
	v_sub_co_u32 v12, vcc_lo, v12, s8
	global_load_b128 v[2:5], v[2:3], off
	v_subrev_co_ci_u32_e32 v13, vcc_lo, 0, v13, vcc_lo
	s_waitcnt vmcnt(0)
	v_mul_f64 v[14:15], v[4:5], -v[6:7]
	v_mul_f64 v[4:5], v[4:5], v[0:1]
	s_delay_alu instid0(VALU_DEP_2) | instskip(NEXT) | instid1(VALU_DEP_2)
	v_fma_f64 v[0:1], v[0:1], v[2:3], v[14:15]
	v_fma_f64 v[2:3], v[6:7], v[2:3], v[4:5]
.LBB79_5:
	s_or_b32 exec_lo, exec_lo, s0
	v_lshlrev_b32_e32 v6, 3, v18
	v_lshlrev_b32_e32 v4, 4, v18
	s_mov_b32 s0, exec_lo
	ds_store_b64 v6, v[12:13] offset:4096
	ds_store_b128 v4, v[0:3]
	v_or_b32_e32 v5, 0x1000, v6
	s_waitcnt lgkmcnt(0)
	s_barrier
	buffer_gl0_inv
	v_cmpx_ne_u32_e32 0, v18
	s_cbranch_execz .LBB79_9
; %bb.6:
	v_add_nc_u32_e32 v6, -8, v5
	s_mov_b32 s1, exec_lo
	ds_load_b64 v[6:7], v6
	s_waitcnt lgkmcnt(0)
	v_cmpx_eq_u64_e64 v[12:13], v[6:7]
	s_cbranch_execz .LBB79_8
; %bb.7:
	v_add_nc_u32_e32 v6, -16, v4
	ds_load_b128 v[14:17], v6
	s_waitcnt lgkmcnt(0)
	v_add_f64 v[0:1], v[0:1], v[14:15]
	v_add_f64 v[2:3], v[2:3], v[16:17]
.LBB79_8:
	s_or_b32 exec_lo, exec_lo, s1
.LBB79_9:
	s_delay_alu instid0(SALU_CYCLE_1) | instskip(NEXT) | instid1(SALU_CYCLE_1)
	s_or_b32 exec_lo, exec_lo, s0
	s_mov_b32 s0, exec_lo
	s_barrier
	buffer_gl0_inv
	ds_store_b128 v4, v[0:3]
	s_waitcnt lgkmcnt(0)
	s_barrier
	buffer_gl0_inv
	v_cmpx_lt_u32_e32 1, v18
	s_cbranch_execz .LBB79_13
; %bb.10:
	v_add_nc_u32_e32 v6, -16, v5
	s_mov_b32 s1, exec_lo
	ds_load_b64 v[6:7], v6
	s_waitcnt lgkmcnt(0)
	v_cmpx_eq_u64_e64 v[12:13], v[6:7]
	s_cbranch_execz .LBB79_12
; %bb.11:
	v_subrev_nc_u32_e32 v6, 32, v4
	ds_load_b128 v[14:17], v6
	s_waitcnt lgkmcnt(0)
	v_add_f64 v[0:1], v[0:1], v[14:15]
	v_add_f64 v[2:3], v[2:3], v[16:17]
.LBB79_12:
	s_or_b32 exec_lo, exec_lo, s1
.LBB79_13:
	s_delay_alu instid0(SALU_CYCLE_1) | instskip(NEXT) | instid1(SALU_CYCLE_1)
	s_or_b32 exec_lo, exec_lo, s0
	s_mov_b32 s0, exec_lo
	s_barrier
	buffer_gl0_inv
	ds_store_b128 v4, v[0:3]
	s_waitcnt lgkmcnt(0)
	s_barrier
	buffer_gl0_inv
	v_cmpx_lt_u32_e32 3, v18
	s_cbranch_execz .LBB79_17
; %bb.14:
	v_subrev_nc_u32_e32 v6, 32, v5
	s_mov_b32 s1, exec_lo
	ds_load_b64 v[6:7], v6
	s_waitcnt lgkmcnt(0)
	v_cmpx_eq_u64_e64 v[12:13], v[6:7]
	s_cbranch_execz .LBB79_16
; %bb.15:
	v_subrev_nc_u32_e32 v6, 64, v4
	ds_load_b128 v[14:17], v6
	s_waitcnt lgkmcnt(0)
	v_add_f64 v[0:1], v[0:1], v[14:15]
	v_add_f64 v[2:3], v[2:3], v[16:17]
.LBB79_16:
	s_or_b32 exec_lo, exec_lo, s1
.LBB79_17:
	s_delay_alu instid0(SALU_CYCLE_1) | instskip(NEXT) | instid1(SALU_CYCLE_1)
	s_or_b32 exec_lo, exec_lo, s0
	s_mov_b32 s0, exec_lo
	s_barrier
	buffer_gl0_inv
	ds_store_b128 v4, v[0:3]
	s_waitcnt lgkmcnt(0)
	s_barrier
	buffer_gl0_inv
	v_cmpx_lt_u32_e32 7, v18
	s_cbranch_execz .LBB79_21
; %bb.18:
	v_subrev_nc_u32_e32 v6, 64, v5
	s_mov_b32 s1, exec_lo
	ds_load_b64 v[6:7], v6
	s_waitcnt lgkmcnt(0)
	v_cmpx_eq_u64_e64 v[12:13], v[6:7]
	s_cbranch_execz .LBB79_20
; %bb.19:
	v_add_nc_u32_e32 v6, 0xffffff80, v4
	ds_load_b128 v[14:17], v6
	s_waitcnt lgkmcnt(0)
	v_add_f64 v[0:1], v[0:1], v[14:15]
	v_add_f64 v[2:3], v[2:3], v[16:17]
.LBB79_20:
	s_or_b32 exec_lo, exec_lo, s1
.LBB79_21:
	s_delay_alu instid0(SALU_CYCLE_1) | instskip(NEXT) | instid1(SALU_CYCLE_1)
	s_or_b32 exec_lo, exec_lo, s0
	s_mov_b32 s0, exec_lo
	s_barrier
	buffer_gl0_inv
	ds_store_b128 v4, v[0:3]
	s_waitcnt lgkmcnt(0)
	s_barrier
	buffer_gl0_inv
	v_cmpx_lt_u32_e32 15, v18
	s_cbranch_execz .LBB79_25
; %bb.22:
	v_add_nc_u32_e32 v6, 0xffffff80, v5
	s_mov_b32 s1, exec_lo
	ds_load_b64 v[6:7], v6
	s_waitcnt lgkmcnt(0)
	v_cmpx_eq_u64_e64 v[12:13], v[6:7]
	s_cbranch_execz .LBB79_24
; %bb.23:
	v_add_nc_u32_e32 v6, 0xffffff00, v4
	ds_load_b128 v[14:17], v6
	s_waitcnt lgkmcnt(0)
	v_add_f64 v[0:1], v[0:1], v[14:15]
	v_add_f64 v[2:3], v[2:3], v[16:17]
.LBB79_24:
	s_or_b32 exec_lo, exec_lo, s1
.LBB79_25:
	s_delay_alu instid0(SALU_CYCLE_1) | instskip(NEXT) | instid1(SALU_CYCLE_1)
	s_or_b32 exec_lo, exec_lo, s0
	s_mov_b32 s0, exec_lo
	s_barrier
	buffer_gl0_inv
	ds_store_b128 v4, v[0:3]
	s_waitcnt lgkmcnt(0)
	s_barrier
	buffer_gl0_inv
	v_cmpx_lt_u32_e32 31, v18
	s_cbranch_execz .LBB79_29
; %bb.26:
	v_add_nc_u32_e32 v6, 0xffffff00, v5
	s_mov_b32 s1, exec_lo
	ds_load_b64 v[6:7], v6
	s_waitcnt lgkmcnt(0)
	v_cmpx_eq_u64_e64 v[12:13], v[6:7]
	s_cbranch_execz .LBB79_28
; %bb.27:
	v_add_nc_u32_e32 v6, 0xfffffe00, v4
	ds_load_b128 v[14:17], v6
	s_waitcnt lgkmcnt(0)
	v_add_f64 v[0:1], v[0:1], v[14:15]
	v_add_f64 v[2:3], v[2:3], v[16:17]
.LBB79_28:
	s_or_b32 exec_lo, exec_lo, s1
.LBB79_29:
	;; [unrolled: 27-line block ×3, first 2 shown]
	s_delay_alu instid0(SALU_CYCLE_1)
	s_or_b32 exec_lo, exec_lo, s0
	s_load_b64 s[2:3], s[2:3], 0x30
	s_mov_b32 s0, exec_lo
	s_waitcnt lgkmcnt(0)
	s_barrier
	buffer_gl0_inv
	ds_store_b128 v4, v[0:3]
	s_waitcnt lgkmcnt(0)
	s_barrier
	buffer_gl0_inv
	v_cmpx_lt_u32_e32 0x7f, v18
	s_cbranch_execz .LBB79_37
; %bb.34:
	v_add_nc_u32_e32 v6, 0xfffffc00, v5
	s_mov_b32 s1, exec_lo
	ds_load_b64 v[6:7], v6
	s_waitcnt lgkmcnt(0)
	v_cmpx_eq_u64_e64 v[12:13], v[6:7]
	s_cbranch_execz .LBB79_36
; %bb.35:
	v_add_nc_u32_e32 v6, 0xfffff800, v4
	ds_load_b128 v[14:17], v6
	s_waitcnt lgkmcnt(0)
	v_add_f64 v[0:1], v[0:1], v[14:15]
	v_add_f64 v[2:3], v[2:3], v[16:17]
.LBB79_36:
	s_or_b32 exec_lo, exec_lo, s1
.LBB79_37:
	s_delay_alu instid0(SALU_CYCLE_1) | instskip(NEXT) | instid1(SALU_CYCLE_1)
	s_or_b32 exec_lo, exec_lo, s0
	s_mov_b32 s1, exec_lo
	s_barrier
	buffer_gl0_inv
	ds_store_b128 v4, v[0:3]
	s_waitcnt lgkmcnt(0)
	s_barrier
	buffer_gl0_inv
	v_cmpx_gt_u32_e32 0xff, v18
	s_cbranch_execz .LBB79_43
; %bb.38:
	ds_load_b64 v[4:5], v5 offset:8
	v_cmp_lt_i64_e64 s0, -1, v[12:13]
	s_waitcnt lgkmcnt(0)
	v_cmp_ne_u64_e32 vcc_lo, v[12:13], v[4:5]
	s_delay_alu instid0(VALU_DEP_2) | instskip(NEXT) | instid1(SALU_CYCLE_1)
	s_and_b32 s0, s0, vcc_lo
	s_and_b32 exec_lo, exec_lo, s0
	s_cbranch_execz .LBB79_43
; %bb.39:
	v_lshlrev_b64 v[4:5], 4, v[12:13]
	s_mov_b32 s0, 0
	s_delay_alu instid0(VALU_DEP_1) | instskip(NEXT) | instid1(VALU_DEP_2)
	v_add_co_u32 v14, vcc_lo, s2, v4
	v_add_co_ci_u32_e32 v15, vcc_lo, s3, v5, vcc_lo
	v_mul_f64 v[4:5], v[2:3], -v[10:11]
	global_load_b64 v[6:7], v[14:15], off
	v_fma_f64 v[16:17], v[8:9], v[0:1], v[4:5]
.LBB79_40:                              ; =>This Inner Loop Header: Depth=1
	s_waitcnt vmcnt(0)
	s_delay_alu instid0(VALU_DEP_1)
	v_add_f64 v[4:5], v[6:7], v[16:17]
	global_atomic_cmpswap_b64 v[4:5], v[14:15], v[4:7], off glc
	s_waitcnt vmcnt(0)
	v_cmp_eq_u64_e32 vcc_lo, v[4:5], v[6:7]
	v_dual_mov_b32 v7, v5 :: v_dual_mov_b32 v6, v4
	s_or_b32 s0, vcc_lo, s0
	s_delay_alu instid0(SALU_CYCLE_1)
	s_and_not1_b32 exec_lo, exec_lo, s0
	s_cbranch_execnz .LBB79_40
; %bb.41:
	s_or_b32 exec_lo, exec_lo, s0
	global_load_b64 v[6:7], v[14:15], off offset:8
	v_mul_f64 v[4:5], v[8:9], v[2:3]
	s_mov_b32 s0, 0
	s_delay_alu instid0(VALU_DEP_1)
	v_fma_f64 v[16:17], v[10:11], v[0:1], v[4:5]
.LBB79_42:                              ; =>This Inner Loop Header: Depth=1
	s_waitcnt vmcnt(0)
	s_delay_alu instid0(VALU_DEP_1)
	v_add_f64 v[4:5], v[6:7], v[16:17]
	global_atomic_cmpswap_b64 v[4:5], v[14:15], v[4:7], off offset:8 glc
	s_waitcnt vmcnt(0)
	v_cmp_eq_u64_e32 vcc_lo, v[4:5], v[6:7]
	v_dual_mov_b32 v7, v5 :: v_dual_mov_b32 v6, v4
	s_or_b32 s0, vcc_lo, s0
	s_delay_alu instid0(SALU_CYCLE_1)
	s_and_not1_b32 exec_lo, exec_lo, s0
	s_cbranch_execnz .LBB79_42
.LBB79_43:
	s_or_b32 exec_lo, exec_lo, s1
	v_cmp_lt_i64_e32 vcc_lo, -1, v[12:13]
	v_cmp_eq_u32_e64 s0, 0xff, v18
	s_delay_alu instid0(VALU_DEP_1) | instskip(NEXT) | instid1(SALU_CYCLE_1)
	s_and_b32 s0, s0, vcc_lo
	s_and_b32 exec_lo, exec_lo, s0
	s_cbranch_execz .LBB79_48
; %bb.44:
	v_lshlrev_b64 v[4:5], 4, v[12:13]
	s_mov_b32 s0, 0
	s_delay_alu instid0(VALU_DEP_1) | instskip(NEXT) | instid1(VALU_DEP_2)
	v_add_co_u32 v12, vcc_lo, s2, v4
	v_add_co_ci_u32_e32 v13, vcc_lo, s3, v5, vcc_lo
	v_mul_f64 v[4:5], v[2:3], -v[10:11]
	global_load_b64 v[6:7], v[12:13], off
	v_fma_f64 v[14:15], v[8:9], v[0:1], v[4:5]
.LBB79_45:                              ; =>This Inner Loop Header: Depth=1
	s_waitcnt vmcnt(0)
	s_delay_alu instid0(VALU_DEP_1)
	v_add_f64 v[4:5], v[6:7], v[14:15]
	global_atomic_cmpswap_b64 v[4:5], v[12:13], v[4:7], off glc
	s_waitcnt vmcnt(0)
	v_cmp_eq_u64_e32 vcc_lo, v[4:5], v[6:7]
	v_dual_mov_b32 v7, v5 :: v_dual_mov_b32 v6, v4
	s_or_b32 s0, vcc_lo, s0
	s_delay_alu instid0(SALU_CYCLE_1)
	s_and_not1_b32 exec_lo, exec_lo, s0
	s_cbranch_execnz .LBB79_45
; %bb.46:
	s_or_b32 exec_lo, exec_lo, s0
	global_load_b64 v[4:5], v[12:13], off offset:8
	v_mul_f64 v[2:3], v[8:9], v[2:3]
	s_mov_b32 s0, 0
	s_delay_alu instid0(VALU_DEP_1)
	v_fma_f64 v[0:1], v[10:11], v[0:1], v[2:3]
.LBB79_47:                              ; =>This Inner Loop Header: Depth=1
	s_waitcnt vmcnt(0)
	s_delay_alu instid0(VALU_DEP_1)
	v_add_f64 v[2:3], v[4:5], v[0:1]
	global_atomic_cmpswap_b64 v[2:3], v[12:13], v[2:5], off offset:8 glc
	s_waitcnt vmcnt(0)
	v_cmp_eq_u64_e32 vcc_lo, v[2:3], v[4:5]
	v_dual_mov_b32 v5, v3 :: v_dual_mov_b32 v4, v2
	s_or_b32 s0, vcc_lo, s0
	s_delay_alu instid0(SALU_CYCLE_1)
	s_and_not1_b32 exec_lo, exec_lo, s0
	s_cbranch_execnz .LBB79_47
.LBB79_48:
	s_endpgm
	.section	.rodata,"a",@progbits
	.p2align	6, 0x0
	.amdhsa_kernel _ZN9rocsparseL23coomvn_aos_atomic_loopsILj256ELj1El21rocsparse_complex_numIfES1_IdES3_S3_EEvlNS_24const_host_device_scalarIT5_EEPKT1_PKT2_PKT3_PT4_21rocsparse_index_base_b
		.amdhsa_group_segment_fixed_size 8192
		.amdhsa_private_segment_fixed_size 0
		.amdhsa_kernarg_size 64
		.amdhsa_user_sgpr_count 15
		.amdhsa_user_sgpr_dispatch_ptr 1
		.amdhsa_user_sgpr_queue_ptr 0
		.amdhsa_user_sgpr_kernarg_segment_ptr 1
		.amdhsa_user_sgpr_dispatch_id 0
		.amdhsa_user_sgpr_private_segment_size 0
		.amdhsa_wavefront_size32 1
		.amdhsa_uses_dynamic_stack 0
		.amdhsa_enable_private_segment 0
		.amdhsa_system_sgpr_workgroup_id_x 1
		.amdhsa_system_sgpr_workgroup_id_y 0
		.amdhsa_system_sgpr_workgroup_id_z 0
		.amdhsa_system_sgpr_workgroup_info 0
		.amdhsa_system_vgpr_workitem_id 2
		.amdhsa_next_free_vgpr 19
		.amdhsa_next_free_sgpr 16
		.amdhsa_reserve_vcc 1
		.amdhsa_float_round_mode_32 0
		.amdhsa_float_round_mode_16_64 0
		.amdhsa_float_denorm_mode_32 3
		.amdhsa_float_denorm_mode_16_64 3
		.amdhsa_dx10_clamp 1
		.amdhsa_ieee_mode 1
		.amdhsa_fp16_overflow 0
		.amdhsa_workgroup_processor_mode 1
		.amdhsa_memory_ordered 1
		.amdhsa_forward_progress 0
		.amdhsa_shared_vgpr_count 0
		.amdhsa_exception_fp_ieee_invalid_op 0
		.amdhsa_exception_fp_denorm_src 0
		.amdhsa_exception_fp_ieee_div_zero 0
		.amdhsa_exception_fp_ieee_overflow 0
		.amdhsa_exception_fp_ieee_underflow 0
		.amdhsa_exception_fp_ieee_inexact 0
		.amdhsa_exception_int_div_zero 0
	.end_amdhsa_kernel
	.section	.text._ZN9rocsparseL23coomvn_aos_atomic_loopsILj256ELj1El21rocsparse_complex_numIfES1_IdES3_S3_EEvlNS_24const_host_device_scalarIT5_EEPKT1_PKT2_PKT3_PT4_21rocsparse_index_base_b,"axG",@progbits,_ZN9rocsparseL23coomvn_aos_atomic_loopsILj256ELj1El21rocsparse_complex_numIfES1_IdES3_S3_EEvlNS_24const_host_device_scalarIT5_EEPKT1_PKT2_PKT3_PT4_21rocsparse_index_base_b,comdat
.Lfunc_end79:
	.size	_ZN9rocsparseL23coomvn_aos_atomic_loopsILj256ELj1El21rocsparse_complex_numIfES1_IdES3_S3_EEvlNS_24const_host_device_scalarIT5_EEPKT1_PKT2_PKT3_PT4_21rocsparse_index_base_b, .Lfunc_end79-_ZN9rocsparseL23coomvn_aos_atomic_loopsILj256ELj1El21rocsparse_complex_numIfES1_IdES3_S3_EEvlNS_24const_host_device_scalarIT5_EEPKT1_PKT2_PKT3_PT4_21rocsparse_index_base_b
                                        ; -- End function
	.section	.AMDGPU.csdata,"",@progbits
; Kernel info:
; codeLenInByte = 2080
; NumSgprs: 18
; NumVgprs: 19
; ScratchSize: 0
; MemoryBound: 0
; FloatMode: 240
; IeeeMode: 1
; LDSByteSize: 8192 bytes/workgroup (compile time only)
; SGPRBlocks: 2
; VGPRBlocks: 2
; NumSGPRsForWavesPerEU: 18
; NumVGPRsForWavesPerEU: 19
; Occupancy: 16
; WaveLimiterHint : 1
; COMPUTE_PGM_RSRC2:SCRATCH_EN: 0
; COMPUTE_PGM_RSRC2:USER_SGPR: 15
; COMPUTE_PGM_RSRC2:TRAP_HANDLER: 0
; COMPUTE_PGM_RSRC2:TGID_X_EN: 1
; COMPUTE_PGM_RSRC2:TGID_Y_EN: 0
; COMPUTE_PGM_RSRC2:TGID_Z_EN: 0
; COMPUTE_PGM_RSRC2:TIDIG_COMP_CNT: 2
	.section	.text._ZN9rocsparseL17coomvt_aos_kernelILj1024El21rocsparse_complex_numIfES1_IdES3_S3_EEv20rocsparse_operation_lNS_24const_host_device_scalarIT4_EEPKT0_PKT1_PKT2_PT3_21rocsparse_index_base_b,"axG",@progbits,_ZN9rocsparseL17coomvt_aos_kernelILj1024El21rocsparse_complex_numIfES1_IdES3_S3_EEv20rocsparse_operation_lNS_24const_host_device_scalarIT4_EEPKT0_PKT1_PKT2_PT3_21rocsparse_index_base_b,comdat
	.globl	_ZN9rocsparseL17coomvt_aos_kernelILj1024El21rocsparse_complex_numIfES1_IdES3_S3_EEv20rocsparse_operation_lNS_24const_host_device_scalarIT4_EEPKT0_PKT1_PKT2_PT3_21rocsparse_index_base_b ; -- Begin function _ZN9rocsparseL17coomvt_aos_kernelILj1024El21rocsparse_complex_numIfES1_IdES3_S3_EEv20rocsparse_operation_lNS_24const_host_device_scalarIT4_EEPKT0_PKT1_PKT2_PT3_21rocsparse_index_base_b
	.p2align	8
	.type	_ZN9rocsparseL17coomvt_aos_kernelILj1024El21rocsparse_complex_numIfES1_IdES3_S3_EEv20rocsparse_operation_lNS_24const_host_device_scalarIT4_EEPKT0_PKT1_PKT2_PT3_21rocsparse_index_base_b,@function
_ZN9rocsparseL17coomvt_aos_kernelILj1024El21rocsparse_complex_numIfES1_IdES3_S3_EEv20rocsparse_operation_lNS_24const_host_device_scalarIT4_EEPKT0_PKT1_PKT2_PT3_21rocsparse_index_base_b: ; @_ZN9rocsparseL17coomvt_aos_kernelILj1024El21rocsparse_complex_numIfES1_IdES3_S3_EEv20rocsparse_operation_lNS_24const_host_device_scalarIT4_EEPKT0_PKT1_PKT2_PT3_21rocsparse_index_base_b
; %bb.0:
	s_load_b64 s[0:1], s[0:1], 0x4
	s_clause 0x1
	s_load_b64 s[12:13], s[2:3], 0x40
	s_load_b128 s[4:7], s[2:3], 0x8
	v_bfe_u32 v3, v0, 10, 10
	s_waitcnt lgkmcnt(0)
	s_lshr_b32 s0, s0, 16
	s_and_b32 s8, 1, s13
	s_mul_i32 s0, s0, s1
	s_cmp_eq_u32 s8, 1
	s_load_b64 s[8:9], s[2:3], 0x18
	v_dual_mov_b32 v4, s6 :: v_dual_and_b32 v1, 0x3ff, v0
	v_bfe_u32 v0, v0, 20, 10
	s_cselect_b32 vcc_lo, -1, 0
	v_mov_b32_e32 v5, s7
	s_delay_alu instid0(VALU_DEP_3) | instskip(NEXT) | instid1(VALU_DEP_1)
	v_mul_lo_u32 v2, s0, v1
	v_mad_u32_u24 v2, v3, s1, v2
	s_mov_b64 s[0:1], src_shared_base
	s_delay_alu instid0(VALU_DEP_1) | instskip(SKIP_2) | instid1(VALU_DEP_2)
	v_add_lshl_u32 v0, v2, v0, 3
	s_waitcnt lgkmcnt(0)
	v_dual_mov_b32 v8, s8 :: v_dual_mov_b32 v9, s9
	v_cndmask_b32_e32 v2, s6, v0, vcc_lo
	s_and_b32 vcc_lo, vcc_lo, exec_lo
	s_cselect_b32 s0, s1, s7
	ds_store_b64 v0, v[4:5]
	v_mov_b32_e32 v3, s0
	flat_load_b64 v[4:5], v[2:3]
	s_cbranch_vccnz .LBB80_2
; %bb.1:
	v_dual_mov_b32 v2, s6 :: v_dual_mov_b32 v3, s7
	flat_load_b64 v[8:9], v[2:3] offset:8
.LBB80_2:
	s_waitcnt vmcnt(0) lgkmcnt(0)
	v_cmp_neq_f64_e32 vcc_lo, 0, v[4:5]
	v_cmp_neq_f64_e64 s0, 0, v[8:9]
	s_delay_alu instid0(VALU_DEP_1) | instskip(NEXT) | instid1(SALU_CYCLE_1)
	s_or_b32 s0, vcc_lo, s0
	s_and_saveexec_b32 s1, s0
	s_cbranch_execz .LBB80_8
; %bb.3:
	s_load_b32 s0, s[2:3], 0x54
	s_waitcnt lgkmcnt(0)
	s_and_b32 s0, s0, 0xffff
	s_delay_alu instid0(SALU_CYCLE_1) | instskip(SKIP_1) | instid1(VALU_DEP_1)
	v_mad_u64_u32 v[2:3], null, s15, s0, v[1:2]
	v_mov_b32_e32 v3, 0
	v_cmp_gt_i64_e32 vcc_lo, s[4:5], v[2:3]
	s_and_b32 exec_lo, exec_lo, vcc_lo
	s_cbranch_execz .LBB80_8
; %bb.4:
	s_load_b256 s[4:11], s[2:3], 0x20
	v_lshlrev_b64 v[0:1], 4, v[2:3]
	s_load_b32 s0, s[2:3], 0x0
	s_waitcnt lgkmcnt(0)
	s_delay_alu instid0(VALU_DEP_1) | instskip(NEXT) | instid1(VALU_DEP_2)
	v_add_co_u32 v0, vcc_lo, s4, v0
	v_add_co_ci_u32_e32 v1, vcc_lo, s5, v1, vcc_lo
	s_cmpk_eq_i32 s0, 0x71
	s_cselect_b32 s0, -1, 0
	global_load_b128 v[10:13], v[0:1], off
	v_lshlrev_b64 v[0:1], 3, v[2:3]
	s_delay_alu instid0(VALU_DEP_1) | instskip(NEXT) | instid1(VALU_DEP_2)
	v_add_co_u32 v0, vcc_lo, s6, v0
	v_add_co_ci_u32_e32 v1, vcc_lo, s7, v1, vcc_lo
	global_load_b64 v[14:15], v[0:1], off
	s_waitcnt vmcnt(1)
	v_sub_co_u32 v0, vcc_lo, v10, s12
	v_subrev_co_ci_u32_e32 v1, vcc_lo, 0, v11, vcc_lo
	s_delay_alu instid0(VALU_DEP_1) | instskip(NEXT) | instid1(VALU_DEP_1)
	v_lshlrev_b64 v[0:1], 4, v[0:1]
	v_add_co_u32 v0, vcc_lo, s8, v0
	s_delay_alu instid0(VALU_DEP_2)
	v_add_co_ci_u32_e32 v1, vcc_lo, s9, v1, vcc_lo
	v_sub_co_u32 v6, vcc_lo, v12, s12
	v_subrev_co_ci_u32_e32 v7, vcc_lo, 0, v13, vcc_lo
	global_load_b128 v[0:3], v[0:1], off
	s_waitcnt vmcnt(1)
	v_cndmask_b32_e64 v12, v15, -v15, s0
	v_cvt_f64_f32_e32 v[14:15], v14
	v_lshlrev_b64 v[6:7], 4, v[6:7]
	s_mov_b32 s0, 0
	s_delay_alu instid0(VALU_DEP_3) | instskip(NEXT) | instid1(VALU_DEP_2)
	v_cvt_f64_f32_e32 v[12:13], v12
	v_add_co_u32 v10, vcc_lo, s10, v6
	s_delay_alu instid0(VALU_DEP_3) | instskip(SKIP_3) | instid1(VALU_DEP_2)
	v_add_co_ci_u32_e32 v11, vcc_lo, s11, v7, vcc_lo
	global_load_b64 v[6:7], v[10:11], off
	v_mul_f64 v[16:17], v[4:5], v[12:13]
	v_mul_f64 v[12:13], -v[8:9], v[12:13]
	v_fma_f64 v[8:9], v[8:9], v[14:15], v[16:17]
	s_delay_alu instid0(VALU_DEP_2) | instskip(SKIP_1) | instid1(VALU_DEP_2)
	v_fma_f64 v[12:13], v[4:5], v[14:15], v[12:13]
	s_waitcnt vmcnt(1)
	v_mul_f64 v[4:5], v[2:3], -v[8:9]
	s_delay_alu instid0(VALU_DEP_1)
	v_fma_f64 v[14:15], v[12:13], v[0:1], v[4:5]
.LBB80_5:                               ; =>This Inner Loop Header: Depth=1
	s_waitcnt vmcnt(0)
	s_delay_alu instid0(VALU_DEP_1)
	v_add_f64 v[4:5], v[6:7], v[14:15]
	global_atomic_cmpswap_b64 v[4:5], v[10:11], v[4:7], off glc
	s_waitcnt vmcnt(0)
	v_cmp_eq_u64_e32 vcc_lo, v[4:5], v[6:7]
	v_dual_mov_b32 v7, v5 :: v_dual_mov_b32 v6, v4
	s_or_b32 s0, vcc_lo, s0
	s_delay_alu instid0(SALU_CYCLE_1)
	s_and_not1_b32 exec_lo, exec_lo, s0
	s_cbranch_execnz .LBB80_5
; %bb.6:
	s_or_b32 exec_lo, exec_lo, s0
	global_load_b64 v[4:5], v[10:11], off offset:8
	v_mul_f64 v[2:3], v[2:3], v[12:13]
	s_mov_b32 s0, 0
	s_delay_alu instid0(VALU_DEP_1)
	v_fma_f64 v[0:1], v[8:9], v[0:1], v[2:3]
.LBB80_7:                               ; =>This Inner Loop Header: Depth=1
	s_waitcnt vmcnt(0)
	s_delay_alu instid0(VALU_DEP_1)
	v_add_f64 v[2:3], v[4:5], v[0:1]
	global_atomic_cmpswap_b64 v[2:3], v[10:11], v[2:5], off offset:8 glc
	s_waitcnt vmcnt(0)
	v_cmp_eq_u64_e32 vcc_lo, v[2:3], v[4:5]
	v_dual_mov_b32 v5, v3 :: v_dual_mov_b32 v4, v2
	s_or_b32 s0, vcc_lo, s0
	s_delay_alu instid0(SALU_CYCLE_1)
	s_and_not1_b32 exec_lo, exec_lo, s0
	s_cbranch_execnz .LBB80_7
.LBB80_8:
	s_endpgm
	.section	.rodata,"a",@progbits
	.p2align	6, 0x0
	.amdhsa_kernel _ZN9rocsparseL17coomvt_aos_kernelILj1024El21rocsparse_complex_numIfES1_IdES3_S3_EEv20rocsparse_operation_lNS_24const_host_device_scalarIT4_EEPKT0_PKT1_PKT2_PT3_21rocsparse_index_base_b
		.amdhsa_group_segment_fixed_size 8192
		.amdhsa_private_segment_fixed_size 0
		.amdhsa_kernarg_size 328
		.amdhsa_user_sgpr_count 15
		.amdhsa_user_sgpr_dispatch_ptr 1
		.amdhsa_user_sgpr_queue_ptr 0
		.amdhsa_user_sgpr_kernarg_segment_ptr 1
		.amdhsa_user_sgpr_dispatch_id 0
		.amdhsa_user_sgpr_private_segment_size 0
		.amdhsa_wavefront_size32 1
		.amdhsa_uses_dynamic_stack 0
		.amdhsa_enable_private_segment 0
		.amdhsa_system_sgpr_workgroup_id_x 1
		.amdhsa_system_sgpr_workgroup_id_y 0
		.amdhsa_system_sgpr_workgroup_id_z 0
		.amdhsa_system_sgpr_workgroup_info 0
		.amdhsa_system_vgpr_workitem_id 2
		.amdhsa_next_free_vgpr 18
		.amdhsa_next_free_sgpr 16
		.amdhsa_reserve_vcc 1
		.amdhsa_float_round_mode_32 0
		.amdhsa_float_round_mode_16_64 0
		.amdhsa_float_denorm_mode_32 3
		.amdhsa_float_denorm_mode_16_64 3
		.amdhsa_dx10_clamp 1
		.amdhsa_ieee_mode 1
		.amdhsa_fp16_overflow 0
		.amdhsa_workgroup_processor_mode 1
		.amdhsa_memory_ordered 1
		.amdhsa_forward_progress 0
		.amdhsa_shared_vgpr_count 0
		.amdhsa_exception_fp_ieee_invalid_op 0
		.amdhsa_exception_fp_denorm_src 0
		.amdhsa_exception_fp_ieee_div_zero 0
		.amdhsa_exception_fp_ieee_overflow 0
		.amdhsa_exception_fp_ieee_underflow 0
		.amdhsa_exception_fp_ieee_inexact 0
		.amdhsa_exception_int_div_zero 0
	.end_amdhsa_kernel
	.section	.text._ZN9rocsparseL17coomvt_aos_kernelILj1024El21rocsparse_complex_numIfES1_IdES3_S3_EEv20rocsparse_operation_lNS_24const_host_device_scalarIT4_EEPKT0_PKT1_PKT2_PT3_21rocsparse_index_base_b,"axG",@progbits,_ZN9rocsparseL17coomvt_aos_kernelILj1024El21rocsparse_complex_numIfES1_IdES3_S3_EEv20rocsparse_operation_lNS_24const_host_device_scalarIT4_EEPKT0_PKT1_PKT2_PT3_21rocsparse_index_base_b,comdat
.Lfunc_end80:
	.size	_ZN9rocsparseL17coomvt_aos_kernelILj1024El21rocsparse_complex_numIfES1_IdES3_S3_EEv20rocsparse_operation_lNS_24const_host_device_scalarIT4_EEPKT0_PKT1_PKT2_PT3_21rocsparse_index_base_b, .Lfunc_end80-_ZN9rocsparseL17coomvt_aos_kernelILj1024El21rocsparse_complex_numIfES1_IdES3_S3_EEv20rocsparse_operation_lNS_24const_host_device_scalarIT4_EEPKT0_PKT1_PKT2_PT3_21rocsparse_index_base_b
                                        ; -- End function
	.section	.AMDGPU.csdata,"",@progbits
; Kernel info:
; codeLenInByte = 700
; NumSgprs: 18
; NumVgprs: 18
; ScratchSize: 0
; MemoryBound: 0
; FloatMode: 240
; IeeeMode: 1
; LDSByteSize: 8192 bytes/workgroup (compile time only)
; SGPRBlocks: 2
; VGPRBlocks: 2
; NumSGPRsForWavesPerEU: 18
; NumVGPRsForWavesPerEU: 18
; Occupancy: 16
; WaveLimiterHint : 1
; COMPUTE_PGM_RSRC2:SCRATCH_EN: 0
; COMPUTE_PGM_RSRC2:USER_SGPR: 15
; COMPUTE_PGM_RSRC2:TRAP_HANDLER: 0
; COMPUTE_PGM_RSRC2:TGID_X_EN: 1
; COMPUTE_PGM_RSRC2:TGID_Y_EN: 0
; COMPUTE_PGM_RSRC2:TGID_Z_EN: 0
; COMPUTE_PGM_RSRC2:TIDIG_COMP_CNT: 2
	.section	.text._ZN9rocsparseL26coomvn_aos_segmented_loopsILj256El21rocsparse_complex_numIfES1_IdES3_S3_EEvlT0_NS_24const_host_device_scalarIT4_EEPKS4_PKT1_PKT2_PT3_PS4_PS6_21rocsparse_index_base_b,"axG",@progbits,_ZN9rocsparseL26coomvn_aos_segmented_loopsILj256El21rocsparse_complex_numIfES1_IdES3_S3_EEvlT0_NS_24const_host_device_scalarIT4_EEPKS4_PKT1_PKT2_PT3_PS4_PS6_21rocsparse_index_base_b,comdat
	.globl	_ZN9rocsparseL26coomvn_aos_segmented_loopsILj256El21rocsparse_complex_numIfES1_IdES3_S3_EEvlT0_NS_24const_host_device_scalarIT4_EEPKS4_PKT1_PKT2_PT3_PS4_PS6_21rocsparse_index_base_b ; -- Begin function _ZN9rocsparseL26coomvn_aos_segmented_loopsILj256El21rocsparse_complex_numIfES1_IdES3_S3_EEvlT0_NS_24const_host_device_scalarIT4_EEPKS4_PKT1_PKT2_PT3_PS4_PS6_21rocsparse_index_base_b
	.p2align	8
	.type	_ZN9rocsparseL26coomvn_aos_segmented_loopsILj256El21rocsparse_complex_numIfES1_IdES3_S3_EEvlT0_NS_24const_host_device_scalarIT4_EEPKS4_PKT1_PKT2_PT3_PS4_PS6_21rocsparse_index_base_b,@function
_ZN9rocsparseL26coomvn_aos_segmented_loopsILj256El21rocsparse_complex_numIfES1_IdES3_S3_EEvlT0_NS_24const_host_device_scalarIT4_EEPKS4_PKT1_PKT2_PT3_PS4_PS6_21rocsparse_index_base_b: ; @_ZN9rocsparseL26coomvn_aos_segmented_loopsILj256El21rocsparse_complex_numIfES1_IdES3_S3_EEvlT0_NS_24const_host_device_scalarIT4_EEPKS4_PKT1_PKT2_PT3_PS4_PS6_21rocsparse_index_base_b
; %bb.0:
	s_load_b64 s[0:1], s[0:1], 0x4
	s_load_b256 s[16:23], s[2:3], 0x0
	v_and_b32_e32 v18, 0x3ff, v0
	s_load_b64 s[26:27], s[2:3], 0x50
	v_bfe_u32 v2, v0, 10, 10
	v_bfe_u32 v0, v0, 20, 10
	s_mov_b32 s24, s15
	s_waitcnt lgkmcnt(0)
	s_lshr_b32 s0, s0, 16
	v_mov_b32_e32 v6, s22
	s_mul_i32 s0, s0, s1
	v_mov_b32_e32 v7, s23
	v_mul_lo_u32 v1, s0, v18
	s_and_b32 s0, 1, s27
	s_delay_alu instid0(SALU_CYCLE_1) | instskip(SKIP_1) | instid1(VALU_DEP_1)
	s_cmp_eq_u32 s0, 1
	s_cselect_b32 vcc_lo, -1, 0
	v_mad_u32_u24 v1, v2, s1, v1
	s_mov_b64 s[0:1], src_shared_base
	v_dual_mov_b32 v2, s20 :: v_dual_mov_b32 v3, s21
	s_delay_alu instid0(VALU_DEP_2) | instskip(NEXT) | instid1(VALU_DEP_1)
	v_add_lshl_u32 v4, v1, v0, 3
	v_add_nc_u32_e32 v0, 0x1800, v4
	ds_store_b64 v4, v[2:3] offset:6144
	v_cndmask_b32_e32 v0, s20, v0, vcc_lo
	s_and_b32 vcc_lo, exec_lo, vcc_lo
	s_cselect_b32 s0, s1, s21
	s_delay_alu instid0(SALU_CYCLE_1)
	v_mov_b32_e32 v1, s0
	flat_load_b64 v[4:5], v[0:1]
	s_cbranch_vccnz .LBB81_2
; %bb.1:
	v_dual_mov_b32 v0, s20 :: v_dual_mov_b32 v1, s21
	flat_load_b64 v[6:7], v[0:1] offset:8
.LBB81_2:
	s_waitcnt vmcnt(0) lgkmcnt(0)
	v_cmp_neq_f64_e32 vcc_lo, 0, v[4:5]
	v_cmp_neq_f64_e64 s0, 0, v[6:7]
	s_delay_alu instid0(VALU_DEP_1) | instskip(NEXT) | instid1(SALU_CYCLE_1)
	s_or_b32 s0, vcc_lo, s0
	s_and_saveexec_b32 s1, s0
	s_cbranch_execz .LBB81_89
; %bb.3:
	s_clause 0x1
	s_load_b128 s[20:23], s[2:3], 0x20
	s_load_b64 s[34:35], s[2:3], 0x30
	s_mul_i32 s0, s24, s19
	s_mul_hi_u32 s1, s24, s18
	s_mov_b32 s25, 0
	s_add_i32 s1, s1, s0
	s_mul_i32 s0, s24, s18
	v_mov_b32_e32 v0, 0
	s_lshl_b64 s[0:1], s[0:1], 8
	v_dual_mov_b32 v1, 0 :: v_dual_mov_b32 v8, -1
	v_mov_b32_e32 v11, s1
	v_or_b32_e32 v10, s0, v18
	v_mov_b32_e32 v9, -1
	s_delay_alu instid0(VALU_DEP_4) | instskip(SKIP_1) | instid1(VALU_DEP_3)
	v_dual_mov_b32 v3, v1 :: v_dual_mov_b32 v2, v0
	s_mov_b32 s0, exec_lo
	v_cmpx_gt_i64_e64 s[16:17], v[10:11]
	s_cbranch_execz .LBB81_5
; %bb.4:
	v_lshlrev_b64 v[0:1], 4, v[10:11]
	s_ashr_i32 s27, s26, 31
	s_delay_alu instid0(SALU_CYCLE_1) | instskip(SKIP_1) | instid1(VALU_DEP_1)
	s_lshl_b64 s[4:5], s[26:27], 4
	s_waitcnt lgkmcnt(0)
	v_add_co_u32 v0, vcc_lo, s20, v0
	s_delay_alu instid0(VALU_DEP_2) | instskip(SKIP_2) | instid1(VALU_DEP_1)
	v_add_co_ci_u32_e32 v1, vcc_lo, s21, v1, vcc_lo
	global_load_b128 v[12:15], v[0:1], off slc dlc
	v_lshlrev_b64 v[0:1], 3, v[10:11]
	v_add_co_u32 v0, vcc_lo, s22, v0
	s_delay_alu instid0(VALU_DEP_2) | instskip(SKIP_3) | instid1(VALU_DEP_1)
	v_add_co_ci_u32_e32 v1, vcc_lo, s23, v1, vcc_lo
	global_load_b64 v[0:1], v[0:1], off slc dlc
	s_waitcnt vmcnt(1)
	v_lshlrev_b64 v[2:3], 4, v[14:15]
	v_add_co_u32 v2, vcc_lo, s34, v2
	s_delay_alu instid0(VALU_DEP_2) | instskip(NEXT) | instid1(VALU_DEP_2)
	v_add_co_ci_u32_e32 v3, vcc_lo, s35, v3, vcc_lo
	v_sub_co_u32 v2, vcc_lo, v2, s4
	s_delay_alu instid0(VALU_DEP_2)
	v_subrev_co_ci_u32_e32 v3, vcc_lo, s5, v3, vcc_lo
	global_load_b128 v[14:17], v[2:3], off
	s_waitcnt vmcnt(1)
	v_cvt_f64_f32_e32 v[2:3], v1
	v_cvt_f64_f32_e32 v[0:1], v0
	s_waitcnt vmcnt(0)
	s_delay_alu instid0(VALU_DEP_2) | instskip(NEXT) | instid1(VALU_DEP_2)
	v_mul_f64 v[8:9], v[16:17], -v[2:3]
	v_mul_f64 v[16:17], v[16:17], v[0:1]
	s_delay_alu instid0(VALU_DEP_2) | instskip(NEXT) | instid1(VALU_DEP_2)
	v_fma_f64 v[0:1], v[0:1], v[14:15], v[8:9]
	v_fma_f64 v[2:3], v[2:3], v[14:15], v[16:17]
	v_sub_co_u32 v8, vcc_lo, v12, s26
	v_subrev_co_ci_u32_e32 v9, vcc_lo, 0, v13, vcc_lo
.LBB81_5:
	s_or_b32 exec_lo, exec_lo, s0
	v_lshlrev_b32_e32 v12, 3, v18
	v_lshlrev_b32_e32 v20, 4, v18
	v_cmp_eq_u32_e64 s0, 0, v18
	v_cmp_ne_u32_e64 s1, 0, v18
	ds_store_b64 v12, v[8:9] offset:4096
	ds_store_b128 v20, v[0:3]
	v_or_b32_e32 v19, 0x1000, v12
	s_waitcnt lgkmcnt(0)
	s_barrier
	buffer_gl0_inv
	v_add_nc_u32_e32 v21, -8, v19
	s_and_saveexec_b32 s4, s1
	s_cbranch_execz .LBB81_9
; %bb.6:
	ds_load_b64 v[13:14], v21
	s_mov_b32 s5, exec_lo
	s_waitcnt lgkmcnt(0)
	v_cmpx_eq_u64_e64 v[8:9], v[13:14]
	s_cbranch_execz .LBB81_8
; %bb.7:
	v_add_nc_u32_e32 v13, -16, v20
	ds_load_b128 v[13:16], v13
	s_waitcnt lgkmcnt(0)
	v_add_f64 v[0:1], v[0:1], v[13:14]
	v_add_f64 v[2:3], v[2:3], v[15:16]
.LBB81_8:
	s_or_b32 exec_lo, exec_lo, s5
.LBB81_9:
	s_delay_alu instid0(SALU_CYCLE_1)
	s_or_b32 exec_lo, exec_lo, s4
	v_cmp_lt_u32_e64 s4, 1, v18
	v_add_nc_u32_e32 v22, -16, v19
	s_barrier
	buffer_gl0_inv
	ds_store_b128 v20, v[0:3]
	s_waitcnt lgkmcnt(0)
	s_barrier
	buffer_gl0_inv
	s_and_saveexec_b32 s5, s4
	s_cbranch_execz .LBB81_13
; %bb.10:
	ds_load_b64 v[13:14], v22
	s_mov_b32 s6, exec_lo
	s_waitcnt lgkmcnt(0)
	v_cmpx_eq_u64_e64 v[8:9], v[13:14]
	s_cbranch_execz .LBB81_12
; %bb.11:
	v_subrev_nc_u32_e32 v13, 32, v20
	ds_load_b128 v[13:16], v13
	s_waitcnt lgkmcnt(0)
	v_add_f64 v[0:1], v[0:1], v[13:14]
	v_add_f64 v[2:3], v[2:3], v[15:16]
.LBB81_12:
	s_or_b32 exec_lo, exec_lo, s6
.LBB81_13:
	s_delay_alu instid0(SALU_CYCLE_1)
	s_or_b32 exec_lo, exec_lo, s5
	v_cmp_lt_u32_e64 s5, 3, v18
	v_subrev_nc_u32_e32 v23, 32, v19
	s_barrier
	buffer_gl0_inv
	ds_store_b128 v20, v[0:3]
	s_waitcnt lgkmcnt(0)
	s_barrier
	buffer_gl0_inv
	s_and_saveexec_b32 s6, s5
	s_cbranch_execz .LBB81_17
; %bb.14:
	ds_load_b64 v[13:14], v23
	s_mov_b32 s7, exec_lo
	s_waitcnt lgkmcnt(0)
	v_cmpx_eq_u64_e64 v[8:9], v[13:14]
	s_cbranch_execz .LBB81_16
; %bb.15:
	v_subrev_nc_u32_e32 v13, 64, v20
	ds_load_b128 v[13:16], v13
	s_waitcnt lgkmcnt(0)
	v_add_f64 v[0:1], v[0:1], v[13:14]
	v_add_f64 v[2:3], v[2:3], v[15:16]
.LBB81_16:
	s_or_b32 exec_lo, exec_lo, s7
.LBB81_17:
	s_delay_alu instid0(SALU_CYCLE_1)
	s_or_b32 exec_lo, exec_lo, s6
	v_cmp_lt_u32_e64 s6, 7, v18
	v_subrev_nc_u32_e32 v24, 64, v19
	s_barrier
	buffer_gl0_inv
	ds_store_b128 v20, v[0:3]
	s_waitcnt lgkmcnt(0)
	s_barrier
	buffer_gl0_inv
	s_and_saveexec_b32 s7, s6
	s_cbranch_execz .LBB81_21
; %bb.18:
	ds_load_b64 v[13:14], v24
	s_mov_b32 s8, exec_lo
	s_waitcnt lgkmcnt(0)
	v_cmpx_eq_u64_e64 v[8:9], v[13:14]
	s_cbranch_execz .LBB81_20
; %bb.19:
	v_add_nc_u32_e32 v13, 0xffffff80, v20
	ds_load_b128 v[13:16], v13
	s_waitcnt lgkmcnt(0)
	v_add_f64 v[0:1], v[0:1], v[13:14]
	v_add_f64 v[2:3], v[2:3], v[15:16]
.LBB81_20:
	s_or_b32 exec_lo, exec_lo, s8
.LBB81_21:
	s_delay_alu instid0(SALU_CYCLE_1)
	s_or_b32 exec_lo, exec_lo, s7
	v_cmp_lt_u32_e64 s7, 15, v18
	v_add_nc_u32_e32 v25, 0xffffff80, v19
	s_barrier
	buffer_gl0_inv
	ds_store_b128 v20, v[0:3]
	s_waitcnt lgkmcnt(0)
	s_barrier
	buffer_gl0_inv
	s_and_saveexec_b32 s8, s7
	s_cbranch_execz .LBB81_25
; %bb.22:
	ds_load_b64 v[13:14], v25
	s_mov_b32 s9, exec_lo
	s_waitcnt lgkmcnt(0)
	v_cmpx_eq_u64_e64 v[8:9], v[13:14]
	s_cbranch_execz .LBB81_24
; %bb.23:
	v_add_nc_u32_e32 v13, 0xffffff00, v20
	ds_load_b128 v[13:16], v13
	s_waitcnt lgkmcnt(0)
	v_add_f64 v[0:1], v[0:1], v[13:14]
	v_add_f64 v[2:3], v[2:3], v[15:16]
.LBB81_24:
	s_or_b32 exec_lo, exec_lo, s9
.LBB81_25:
	s_delay_alu instid0(SALU_CYCLE_1)
	s_or_b32 exec_lo, exec_lo, s8
	v_cmp_lt_u32_e64 s8, 31, v18
	v_add_nc_u32_e32 v26, 0xffffff00, v19
	;; [unrolled: 27-line block ×3, first 2 shown]
	s_barrier
	buffer_gl0_inv
	ds_store_b128 v20, v[0:3]
	s_waitcnt lgkmcnt(0)
	s_barrier
	buffer_gl0_inv
	s_and_saveexec_b32 s10, s9
	s_cbranch_execz .LBB81_33
; %bb.30:
	ds_load_b64 v[13:14], v27
	s_mov_b32 s11, exec_lo
	s_waitcnt lgkmcnt(0)
	v_cmpx_eq_u64_e64 v[8:9], v[13:14]
	s_cbranch_execz .LBB81_32
; %bb.31:
	v_add_nc_u32_e32 v13, 0xfffffc00, v20
	ds_load_b128 v[13:16], v13
	s_waitcnt lgkmcnt(0)
	v_add_f64 v[0:1], v[0:1], v[13:14]
	v_add_f64 v[2:3], v[2:3], v[15:16]
.LBB81_32:
	s_or_b32 exec_lo, exec_lo, s11
.LBB81_33:
	s_delay_alu instid0(SALU_CYCLE_1)
	s_or_b32 exec_lo, exec_lo, s10
	s_load_b64 s[28:29], s[2:3], 0x38
	v_cmp_lt_u32_e64 s10, 0x7f, v18
	v_add_nc_u32_e32 v28, 0xfffffc00, v19
	s_waitcnt lgkmcnt(0)
	s_barrier
	buffer_gl0_inv
	ds_store_b128 v20, v[0:3]
	s_waitcnt lgkmcnt(0)
	s_barrier
	buffer_gl0_inv
	s_and_saveexec_b32 s11, s10
	s_cbranch_execz .LBB81_37
; %bb.34:
	ds_load_b64 v[13:14], v28
	s_mov_b32 s12, exec_lo
	s_waitcnt lgkmcnt(0)
	v_cmpx_eq_u64_e64 v[8:9], v[13:14]
	s_cbranch_execz .LBB81_36
; %bb.35:
	v_add_nc_u32_e32 v13, 0xfffff800, v20
	ds_load_b128 v[13:16], v13
	s_waitcnt lgkmcnt(0)
	v_add_f64 v[0:1], v[0:1], v[13:14]
	v_add_f64 v[2:3], v[2:3], v[15:16]
.LBB81_36:
	s_or_b32 exec_lo, exec_lo, s12
.LBB81_37:
	s_delay_alu instid0(SALU_CYCLE_1)
	s_or_b32 exec_lo, exec_lo, s11
	v_cmp_gt_u32_e64 s11, 0xff, v18
	s_barrier
	buffer_gl0_inv
	ds_store_b128 v20, v[0:3]
	s_waitcnt lgkmcnt(0)
	s_barrier
	buffer_gl0_inv
	s_and_saveexec_b32 s13, s11
	s_cbranch_execz .LBB81_40
; %bb.38:
	ds_load_b64 v[13:14], v19 offset:8
	v_cmp_lt_i64_e64 s12, -1, v[8:9]
	s_waitcnt lgkmcnt(0)
	v_cmp_ne_u64_e32 vcc_lo, v[8:9], v[13:14]
	s_delay_alu instid0(VALU_DEP_2) | instskip(NEXT) | instid1(SALU_CYCLE_1)
	s_and_b32 s12, s12, vcc_lo
	s_and_b32 exec_lo, exec_lo, s12
	s_cbranch_execz .LBB81_40
; %bb.39:
	v_lshlrev_b64 v[13:14], 4, v[8:9]
	s_delay_alu instid0(VALU_DEP_1) | instskip(NEXT) | instid1(VALU_DEP_2)
	v_add_co_u32 v29, vcc_lo, s28, v13
	v_add_co_ci_u32_e32 v30, vcc_lo, s29, v14, vcc_lo
	global_load_b128 v[13:16], v[29:30], off
	s_waitcnt vmcnt(0)
	v_fma_f64 v[13:14], v[4:5], v[0:1], v[13:14]
	v_fma_f64 v[15:16], v[6:7], v[0:1], v[15:16]
	s_delay_alu instid0(VALU_DEP_2) | instskip(NEXT) | instid1(VALU_DEP_2)
	v_fma_f64 v[13:14], -v[6:7], v[2:3], v[13:14]
	v_fma_f64 v[15:16], v[4:5], v[2:3], v[15:16]
	global_store_b128 v[29:30], v[13:16], off
.LBB81_40:
	s_or_b32 exec_lo, exec_lo, s13
	s_load_b128 s[12:15], s[2:3], 0x40
	v_cmp_lt_i64_e64 s2, s[18:19], 2
	s_delay_alu instid0(VALU_DEP_1)
	s_and_b32 vcc_lo, exec_lo, s2
	s_cbranch_vccnz .LBB81_87
; %bb.41:
	s_add_u32 s30, s18, -1
	s_addc_u32 s31, s19, -1
	s_ashr_i32 s27, s26, 31
	s_mul_i32 s2, s19, s24
	s_lshl_b64 s[36:37], s[26:27], 4
	s_mul_hi_u32 s19, s18, s24
	s_sub_u32 s3, s34, s36
	s_subb_u32 s27, s35, s37
	s_add_i32 s19, s19, s2
	s_mul_i32 s18, s18, s24
	v_add_nc_u32_e32 v29, -16, v20
	s_lshl_b64 s[34:35], s[18:19], 11
	v_subrev_nc_u32_e32 v30, 32, v20
	s_add_u32 s2, s22, s34
	s_addc_u32 s22, s23, s35
	s_lshl_b64 s[18:19], s[18:19], 12
	v_add_co_u32 v0, s2, s2, v12
	s_delay_alu instid0(VALU_DEP_1) | instskip(SKIP_3) | instid1(VALU_DEP_1)
	v_add_co_ci_u32_e64 v1, null, s22, 0, s2
	s_add_u32 s2, s20, s18
	s_addc_u32 s18, s21, s19
	v_add_co_u32 v2, s2, s2, v20
	v_add_co_ci_u32_e64 v3, null, s18, 0, s2
	v_add_co_u32 v12, vcc_lo, 0x800, v0
	v_add_co_ci_u32_e32 v13, vcc_lo, 0, v1, vcc_lo
	s_delay_alu instid0(VALU_DEP_4) | instskip(NEXT) | instid1(VALU_DEP_4)
	v_add_co_u32 v14, vcc_lo, 0x1008, v2
	v_add_co_ci_u32_e32 v15, vcc_lo, 0, v3, vcc_lo
	v_add_co_u32 v10, vcc_lo, 0x100, v10
	v_subrev_nc_u32_e32 v31, 64, v20
	v_dual_mov_b32 v37, 0 :: v_dual_add_nc_u32 v32, 0xffffff80, v20
	v_add_nc_u32_e32 v33, 0xffffff00, v20
	v_add_nc_u32_e32 v34, 0xfffffe00, v20
	;; [unrolled: 1-line block ×4, first 2 shown]
	v_add_co_ci_u32_e32 v11, vcc_lo, 0, v11, vcc_lo
	s_mov_b64 s[18:19], 0
	s_branch .LBB81_43
.LBB81_42:                              ;   in Loop: Header=BB81_43 Depth=1
	s_or_b32 exec_lo, exec_lo, s20
	v_add_co_u32 v12, vcc_lo, 0x800, v12
	s_add_u32 s18, s18, 1
	v_add_co_ci_u32_e32 v13, vcc_lo, 0, v13, vcc_lo
	s_addc_u32 s19, s19, 0
	v_add_co_u32 v14, vcc_lo, 0x1000, v14
	v_cmp_le_u64_e64 s2, s[30:31], s[18:19]
	v_add_co_ci_u32_e32 v15, vcc_lo, 0, v15, vcc_lo
	v_add_co_u32 v10, vcc_lo, 0x100, v10
	v_add_co_ci_u32_e32 v11, vcc_lo, 0, v11, vcc_lo
	s_delay_alu instid0(VALU_DEP_4)
	s_and_b32 vcc_lo, exec_lo, s2
	s_cbranch_vccnz .LBB81_87
.LBB81_43:                              ; =>This Inner Loop Header: Depth=1
	v_mov_b32_e32 v0, 0
	v_dual_mov_b32 v1, 0 :: v_dual_mov_b32 v8, -1
	v_mov_b32_e32 v9, -1
	s_mov_b32 s2, exec_lo
	s_delay_alu instid0(VALU_DEP_2)
	v_dual_mov_b32 v3, v1 :: v_dual_mov_b32 v2, v0
	v_cmpx_gt_i64_e64 s[16:17], v[10:11]
	s_cbranch_execz .LBB81_45
; %bb.44:                               ;   in Loop: Header=BB81_43 Depth=1
	global_load_b128 v[38:41], v[14:15], off offset:-8 slc dlc
	global_load_b64 v[0:1], v[12:13], off slc dlc
	s_waitcnt vmcnt(1)
	v_lshlrev_b64 v[2:3], 4, v[40:41]
	s_delay_alu instid0(VALU_DEP_1) | instskip(NEXT) | instid1(VALU_DEP_2)
	v_add_co_u32 v2, vcc_lo, s3, v2
	v_add_co_ci_u32_e32 v3, vcc_lo, s27, v3, vcc_lo
	global_load_b128 v[40:43], v[2:3], off
	s_waitcnt vmcnt(1)
	v_cvt_f64_f32_e32 v[2:3], v1
	v_cvt_f64_f32_e32 v[0:1], v0
	s_waitcnt vmcnt(0)
	s_delay_alu instid0(VALU_DEP_2) | instskip(NEXT) | instid1(VALU_DEP_2)
	v_mul_f64 v[8:9], v[42:43], -v[2:3]
	v_mul_f64 v[16:17], v[42:43], v[0:1]
	s_delay_alu instid0(VALU_DEP_2) | instskip(NEXT) | instid1(VALU_DEP_2)
	v_fma_f64 v[0:1], v[0:1], v[40:41], v[8:9]
	v_fma_f64 v[2:3], v[2:3], v[40:41], v[16:17]
	v_sub_co_u32 v8, vcc_lo, v38, s26
	v_subrev_co_ci_u32_e32 v9, vcc_lo, 0, v39, vcc_lo
.LBB81_45:                              ;   in Loop: Header=BB81_43 Depth=1
	s_or_b32 exec_lo, exec_lo, s2
	s_and_saveexec_b32 s2, s0
	s_cbranch_execz .LBB81_52
; %bb.46:                               ;   in Loop: Header=BB81_43 Depth=1
	ds_load_b64 v[16:17], v37 offset:6136
	s_mov_b32 s20, exec_lo
	s_waitcnt lgkmcnt(0)
	v_cmpx_ne_u64_e64 v[8:9], v[16:17]
	s_xor_b32 s20, exec_lo, s20
	s_cbranch_execz .LBB81_49
; %bb.47:                               ;   in Loop: Header=BB81_43 Depth=1
	v_cmp_gt_i64_e32 vcc_lo, 0, v[16:17]
	s_cbranch_vccnz .LBB81_49
; %bb.48:                               ;   in Loop: Header=BB81_43 Depth=1
	v_lshlrev_b64 v[16:17], 4, v[16:17]
	ds_load_b128 v[42:45], v37 offset:4080
	v_add_co_u32 v16, vcc_lo, s28, v16
	v_add_co_ci_u32_e32 v17, vcc_lo, s29, v17, vcc_lo
	global_load_b128 v[38:41], v[16:17], off
	s_waitcnt vmcnt(0) lgkmcnt(0)
	v_fma_f64 v[38:39], v[4:5], v[42:43], v[38:39]
	v_fma_f64 v[40:41], v[6:7], v[42:43], v[40:41]
	s_delay_alu instid0(VALU_DEP_2) | instskip(NEXT) | instid1(VALU_DEP_2)
	v_fma_f64 v[38:39], -v[6:7], v[44:45], v[38:39]
	v_fma_f64 v[40:41], v[4:5], v[44:45], v[40:41]
	global_store_b128 v[16:17], v[38:41], off
.LBB81_49:                              ;   in Loop: Header=BB81_43 Depth=1
	s_and_not1_saveexec_b32 s20, s20
	s_cbranch_execz .LBB81_51
; %bb.50:                               ;   in Loop: Header=BB81_43 Depth=1
	ds_load_b128 v[38:41], v37 offset:4080
	s_waitcnt lgkmcnt(0)
	v_add_f64 v[0:1], v[0:1], v[38:39]
	v_add_f64 v[2:3], v[2:3], v[40:41]
.LBB81_51:                              ;   in Loop: Header=BB81_43 Depth=1
	s_or_b32 exec_lo, exec_lo, s20
.LBB81_52:                              ;   in Loop: Header=BB81_43 Depth=1
	s_delay_alu instid0(SALU_CYCLE_1)
	s_or_b32 exec_lo, exec_lo, s2
	s_waitcnt lgkmcnt(0)
	s_waitcnt_vscnt null, 0x0
	s_barrier
	buffer_gl0_inv
	ds_store_b64 v19, v[8:9]
	ds_store_b128 v20, v[0:3]
	s_waitcnt lgkmcnt(0)
	s_barrier
	buffer_gl0_inv
	s_and_saveexec_b32 s2, s1
	s_cbranch_execz .LBB81_56
; %bb.53:                               ;   in Loop: Header=BB81_43 Depth=1
	ds_load_b64 v[16:17], v21
	s_mov_b32 s20, exec_lo
	s_waitcnt lgkmcnt(0)
	v_cmpx_eq_u64_e64 v[8:9], v[16:17]
	s_cbranch_execz .LBB81_55
; %bb.54:                               ;   in Loop: Header=BB81_43 Depth=1
	ds_load_b128 v[38:41], v29
	s_waitcnt lgkmcnt(0)
	v_add_f64 v[0:1], v[0:1], v[38:39]
	v_add_f64 v[2:3], v[2:3], v[40:41]
.LBB81_55:                              ;   in Loop: Header=BB81_43 Depth=1
	s_or_b32 exec_lo, exec_lo, s20
.LBB81_56:                              ;   in Loop: Header=BB81_43 Depth=1
	s_delay_alu instid0(SALU_CYCLE_1)
	s_or_b32 exec_lo, exec_lo, s2
	s_barrier
	buffer_gl0_inv
	ds_store_b128 v20, v[0:3]
	s_waitcnt lgkmcnt(0)
	s_barrier
	buffer_gl0_inv
	s_and_saveexec_b32 s2, s4
	s_cbranch_execz .LBB81_60
; %bb.57:                               ;   in Loop: Header=BB81_43 Depth=1
	ds_load_b64 v[16:17], v22
	s_mov_b32 s20, exec_lo
	s_waitcnt lgkmcnt(0)
	v_cmpx_eq_u64_e64 v[8:9], v[16:17]
	s_cbranch_execz .LBB81_59
; %bb.58:                               ;   in Loop: Header=BB81_43 Depth=1
	ds_load_b128 v[38:41], v30
	s_waitcnt lgkmcnt(0)
	v_add_f64 v[0:1], v[0:1], v[38:39]
	v_add_f64 v[2:3], v[2:3], v[40:41]
.LBB81_59:                              ;   in Loop: Header=BB81_43 Depth=1
	s_or_b32 exec_lo, exec_lo, s20
.LBB81_60:                              ;   in Loop: Header=BB81_43 Depth=1
	s_delay_alu instid0(SALU_CYCLE_1)
	s_or_b32 exec_lo, exec_lo, s2
	s_barrier
	buffer_gl0_inv
	;; [unrolled: 24-line block ×8, first 2 shown]
	ds_store_b128 v20, v[0:3]
	s_waitcnt lgkmcnt(0)
	s_barrier
	buffer_gl0_inv
	s_and_saveexec_b32 s20, s11
	s_cbranch_execz .LBB81_42
; %bb.85:                               ;   in Loop: Header=BB81_43 Depth=1
	ds_load_b64 v[16:17], v19 offset:8
	v_cmp_lt_i64_e64 s2, -1, v[8:9]
	s_waitcnt lgkmcnt(0)
	v_cmp_ne_u64_e32 vcc_lo, v[8:9], v[16:17]
	s_delay_alu instid0(VALU_DEP_2) | instskip(NEXT) | instid1(SALU_CYCLE_1)
	s_and_b32 s2, s2, vcc_lo
	s_and_b32 exec_lo, exec_lo, s2
	s_cbranch_execz .LBB81_42
; %bb.86:                               ;   in Loop: Header=BB81_43 Depth=1
	v_lshlrev_b64 v[16:17], 4, v[8:9]
	s_delay_alu instid0(VALU_DEP_1) | instskip(NEXT) | instid1(VALU_DEP_2)
	v_add_co_u32 v16, vcc_lo, s28, v16
	v_add_co_ci_u32_e32 v17, vcc_lo, s29, v17, vcc_lo
	global_load_b128 v[38:41], v[16:17], off
	s_waitcnt vmcnt(0)
	v_fma_f64 v[38:39], v[4:5], v[0:1], v[38:39]
	v_fma_f64 v[40:41], v[6:7], v[0:1], v[40:41]
	s_delay_alu instid0(VALU_DEP_2) | instskip(NEXT) | instid1(VALU_DEP_2)
	v_fma_f64 v[38:39], -v[6:7], v[2:3], v[38:39]
	v_fma_f64 v[40:41], v[4:5], v[2:3], v[40:41]
	global_store_b128 v[16:17], v[38:41], off
	s_branch .LBB81_42
.LBB81_87:
	v_cmp_eq_u32_e32 vcc_lo, 0xff, v18
	s_and_b32 exec_lo, exec_lo, vcc_lo
	s_cbranch_execz .LBB81_89
; %bb.88:
	v_mul_f64 v[10:11], v[2:3], -v[6:7]
	v_mul_f64 v[12:13], v[4:5], v[2:3]
	s_lshl_b64 s[0:1], s[24:25], 3
	s_waitcnt lgkmcnt(0)
	s_add_u32 s0, s12, s0
	s_addc_u32 s1, s13, s1
	s_lshl_b64 s[2:3], s[24:25], 4
	s_delay_alu instid0(SALU_CYCLE_1) | instskip(SKIP_1) | instid1(VALU_DEP_2)
	s_add_u32 s2, s14, s2
	s_addc_u32 s3, s15, s3
	v_fma_f64 v[2:3], v[4:5], v[0:1], v[10:11]
	s_delay_alu instid0(VALU_DEP_2)
	v_fma_f64 v[4:5], v[6:7], v[0:1], v[12:13]
	v_mov_b32_e32 v0, 0
	s_clause 0x1
	global_store_b64 v0, v[8:9], s[0:1] glc slc dlc
	global_store_b128 v0, v[2:5], s[2:3] glc slc dlc
.LBB81_89:
	s_nop 0
	s_sendmsg sendmsg(MSG_DEALLOC_VGPRS)
	s_endpgm
	.section	.rodata,"a",@progbits
	.p2align	6, 0x0
	.amdhsa_kernel _ZN9rocsparseL26coomvn_aos_segmented_loopsILj256El21rocsparse_complex_numIfES1_IdES3_S3_EEvlT0_NS_24const_host_device_scalarIT4_EEPKS4_PKT1_PKT2_PT3_PS4_PS6_21rocsparse_index_base_b
		.amdhsa_group_segment_fixed_size 8192
		.amdhsa_private_segment_fixed_size 0
		.amdhsa_kernarg_size 88
		.amdhsa_user_sgpr_count 15
		.amdhsa_user_sgpr_dispatch_ptr 1
		.amdhsa_user_sgpr_queue_ptr 0
		.amdhsa_user_sgpr_kernarg_segment_ptr 1
		.amdhsa_user_sgpr_dispatch_id 0
		.amdhsa_user_sgpr_private_segment_size 0
		.amdhsa_wavefront_size32 1
		.amdhsa_uses_dynamic_stack 0
		.amdhsa_enable_private_segment 0
		.amdhsa_system_sgpr_workgroup_id_x 1
		.amdhsa_system_sgpr_workgroup_id_y 0
		.amdhsa_system_sgpr_workgroup_id_z 0
		.amdhsa_system_sgpr_workgroup_info 0
		.amdhsa_system_vgpr_workitem_id 2
		.amdhsa_next_free_vgpr 46
		.amdhsa_next_free_sgpr 38
		.amdhsa_reserve_vcc 1
		.amdhsa_float_round_mode_32 0
		.amdhsa_float_round_mode_16_64 0
		.amdhsa_float_denorm_mode_32 3
		.amdhsa_float_denorm_mode_16_64 3
		.amdhsa_dx10_clamp 1
		.amdhsa_ieee_mode 1
		.amdhsa_fp16_overflow 0
		.amdhsa_workgroup_processor_mode 1
		.amdhsa_memory_ordered 1
		.amdhsa_forward_progress 0
		.amdhsa_shared_vgpr_count 0
		.amdhsa_exception_fp_ieee_invalid_op 0
		.amdhsa_exception_fp_denorm_src 0
		.amdhsa_exception_fp_ieee_div_zero 0
		.amdhsa_exception_fp_ieee_overflow 0
		.amdhsa_exception_fp_ieee_underflow 0
		.amdhsa_exception_fp_ieee_inexact 0
		.amdhsa_exception_int_div_zero 0
	.end_amdhsa_kernel
	.section	.text._ZN9rocsparseL26coomvn_aos_segmented_loopsILj256El21rocsparse_complex_numIfES1_IdES3_S3_EEvlT0_NS_24const_host_device_scalarIT4_EEPKS4_PKT1_PKT2_PT3_PS4_PS6_21rocsparse_index_base_b,"axG",@progbits,_ZN9rocsparseL26coomvn_aos_segmented_loopsILj256El21rocsparse_complex_numIfES1_IdES3_S3_EEvlT0_NS_24const_host_device_scalarIT4_EEPKS4_PKT1_PKT2_PT3_PS4_PS6_21rocsparse_index_base_b,comdat
.Lfunc_end81:
	.size	_ZN9rocsparseL26coomvn_aos_segmented_loopsILj256El21rocsparse_complex_numIfES1_IdES3_S3_EEvlT0_NS_24const_host_device_scalarIT4_EEPKS4_PKT1_PKT2_PT3_PS4_PS6_21rocsparse_index_base_b, .Lfunc_end81-_ZN9rocsparseL26coomvn_aos_segmented_loopsILj256El21rocsparse_complex_numIfES1_IdES3_S3_EEvlT0_NS_24const_host_device_scalarIT4_EEPKS4_PKT1_PKT2_PT3_PS4_PS6_21rocsparse_index_base_b
                                        ; -- End function
	.section	.AMDGPU.csdata,"",@progbits
; Kernel info:
; codeLenInByte = 3672
; NumSgprs: 40
; NumVgprs: 46
; ScratchSize: 0
; MemoryBound: 0
; FloatMode: 240
; IeeeMode: 1
; LDSByteSize: 8192 bytes/workgroup (compile time only)
; SGPRBlocks: 4
; VGPRBlocks: 5
; NumSGPRsForWavesPerEU: 40
; NumVGPRsForWavesPerEU: 46
; Occupancy: 16
; WaveLimiterHint : 1
; COMPUTE_PGM_RSRC2:SCRATCH_EN: 0
; COMPUTE_PGM_RSRC2:USER_SGPR: 15
; COMPUTE_PGM_RSRC2:TRAP_HANDLER: 0
; COMPUTE_PGM_RSRC2:TGID_X_EN: 1
; COMPUTE_PGM_RSRC2:TGID_Y_EN: 0
; COMPUTE_PGM_RSRC2:TGID_Z_EN: 0
; COMPUTE_PGM_RSRC2:TIDIG_COMP_CNT: 2
	.text
	.p2alignl 7, 3214868480
	.fill 96, 4, 3214868480
	.type	__hip_cuid_ab3958913ffd1105,@object ; @__hip_cuid_ab3958913ffd1105
	.section	.bss,"aw",@nobits
	.globl	__hip_cuid_ab3958913ffd1105
__hip_cuid_ab3958913ffd1105:
	.byte	0                               ; 0x0
	.size	__hip_cuid_ab3958913ffd1105, 1

	.ident	"AMD clang version 19.0.0git (https://github.com/RadeonOpenCompute/llvm-project roc-6.4.0 25133 c7fe45cf4b819c5991fe208aaa96edf142730f1d)"
	.section	".note.GNU-stack","",@progbits
	.addrsig
	.addrsig_sym __hip_cuid_ab3958913ffd1105
	.amdgpu_metadata
---
amdhsa.kernels:
  - .args:
      - .offset:         0
        .size:           8
        .value_kind:     by_value
      - .offset:         8
        .size:           8
        .value_kind:     by_value
      - .actual_access:  read_only
        .address_space:  global
        .offset:         16
        .size:           8
        .value_kind:     global_buffer
      - .actual_access:  read_only
        .address_space:  global
        .offset:         24
        .size:           8
        .value_kind:     global_buffer
      - .actual_access:  read_only
        .address_space:  global
        .offset:         32
        .size:           8
        .value_kind:     global_buffer
      - .address_space:  global
        .offset:         40
        .size:           8
        .value_kind:     global_buffer
      - .offset:         48
        .size:           4
        .value_kind:     by_value
      - .offset:         52
        .size:           1
        .value_kind:     by_value
    .group_segment_fixed_size: 2048
    .kernarg_segment_align: 8
    .kernarg_segment_size: 56
    .language:       OpenCL C
    .language_version:
      - 2
      - 0
    .max_flat_workgroup_size: 256
    .name:           _ZN9rocsparseL23coomvn_aos_atomic_loopsILj256ELj1EiffffEEvlNS_24const_host_device_scalarIT5_EEPKT1_PKT2_PKT3_PT4_21rocsparse_index_base_b
    .private_segment_fixed_size: 0
    .sgpr_count:     18
    .sgpr_spill_count: 0
    .symbol:         _ZN9rocsparseL23coomvn_aos_atomic_loopsILj256ELj1EiffffEEvlNS_24const_host_device_scalarIT5_EEPKT1_PKT2_PKT3_PT4_21rocsparse_index_base_b.kd
    .uniform_work_group_size: 1
    .uses_dynamic_stack: false
    .vgpr_count:     8
    .vgpr_spill_count: 0
    .wavefront_size: 32
    .workgroup_processor_mode: 1
  - .args:
      - .offset:         0
        .size:           4
        .value_kind:     by_value
      - .offset:         8
        .size:           8
        .value_kind:     by_value
      - .offset:         16
        .size:           8
        .value_kind:     by_value
      - .actual_access:  read_only
        .address_space:  global
        .offset:         24
        .size:           8
        .value_kind:     global_buffer
      - .actual_access:  read_only
        .address_space:  global
        .offset:         32
        .size:           8
        .value_kind:     global_buffer
      - .actual_access:  read_only
        .address_space:  global
        .offset:         40
        .size:           8
        .value_kind:     global_buffer
      - .address_space:  global
        .offset:         48
        .size:           8
        .value_kind:     global_buffer
      - .offset:         56
        .size:           4
        .value_kind:     by_value
      - .offset:         60
        .size:           1
        .value_kind:     by_value
      - .offset:         64
        .size:           4
        .value_kind:     hidden_block_count_x
      - .offset:         68
        .size:           4
        .value_kind:     hidden_block_count_y
      - .offset:         72
        .size:           4
        .value_kind:     hidden_block_count_z
      - .offset:         76
        .size:           2
        .value_kind:     hidden_group_size_x
      - .offset:         78
        .size:           2
        .value_kind:     hidden_group_size_y
      - .offset:         80
        .size:           2
        .value_kind:     hidden_group_size_z
      - .offset:         82
        .size:           2
        .value_kind:     hidden_remainder_x
      - .offset:         84
        .size:           2
        .value_kind:     hidden_remainder_y
      - .offset:         86
        .size:           2
        .value_kind:     hidden_remainder_z
      - .offset:         104
        .size:           8
        .value_kind:     hidden_global_offset_x
      - .offset:         112
        .size:           8
        .value_kind:     hidden_global_offset_y
      - .offset:         120
        .size:           8
        .value_kind:     hidden_global_offset_z
      - .offset:         128
        .size:           2
        .value_kind:     hidden_grid_dims
    .group_segment_fixed_size: 0
    .kernarg_segment_align: 8
    .kernarg_segment_size: 320
    .language:       OpenCL C
    .language_version:
      - 2
      - 0
    .max_flat_workgroup_size: 1024
    .name:           _ZN9rocsparseL17coomvt_aos_kernelILj1024EiffffEEv20rocsparse_operation_lNS_24const_host_device_scalarIT4_EEPKT0_PKT1_PKT2_PT3_21rocsparse_index_base_b
    .private_segment_fixed_size: 0
    .sgpr_count:     18
    .sgpr_spill_count: 0
    .symbol:         _ZN9rocsparseL17coomvt_aos_kernelILj1024EiffffEEv20rocsparse_operation_lNS_24const_host_device_scalarIT4_EEPKT0_PKT1_PKT2_PT3_21rocsparse_index_base_b.kd
    .uniform_work_group_size: 1
    .uses_dynamic_stack: false
    .vgpr_count:     7
    .vgpr_spill_count: 0
    .wavefront_size: 32
    .workgroup_processor_mode: 1
  - .args:
      - .offset:         0
        .size:           8
        .value_kind:     by_value
      - .offset:         8
        .size:           4
        .value_kind:     by_value
      - .offset:         16
        .size:           8
        .value_kind:     by_value
      - .actual_access:  read_only
        .address_space:  global
        .offset:         24
        .size:           8
        .value_kind:     global_buffer
      - .actual_access:  read_only
        .address_space:  global
        .offset:         32
        .size:           8
        .value_kind:     global_buffer
      - .actual_access:  read_only
        .address_space:  global
        .offset:         40
        .size:           8
        .value_kind:     global_buffer
      - .address_space:  global
        .offset:         48
        .size:           8
        .value_kind:     global_buffer
      - .actual_access:  write_only
        .address_space:  global
        .offset:         56
        .size:           8
        .value_kind:     global_buffer
      - .actual_access:  write_only
        .address_space:  global
        .offset:         64
        .size:           8
        .value_kind:     global_buffer
      - .offset:         72
        .size:           4
        .value_kind:     by_value
      - .offset:         76
        .size:           1
        .value_kind:     by_value
    .group_segment_fixed_size: 2048
    .kernarg_segment_align: 8
    .kernarg_segment_size: 80
    .language:       OpenCL C
    .language_version:
      - 2
      - 0
    .max_flat_workgroup_size: 256
    .name:           _ZN9rocsparseL26coomvn_aos_segmented_loopsILj256EiffffEEvlT0_NS_24const_host_device_scalarIT4_EEPKS1_PKT1_PKT2_PT3_PS1_PS3_21rocsparse_index_base_b
    .private_segment_fixed_size: 0
    .sgpr_count:     34
    .sgpr_spill_count: 0
    .symbol:         _ZN9rocsparseL26coomvn_aos_segmented_loopsILj256EiffffEEvlT0_NS_24const_host_device_scalarIT4_EEPKS1_PKT1_PKT2_PT3_PS1_PS3_21rocsparse_index_base_b.kd
    .uniform_work_group_size: 1
    .uses_dynamic_stack: false
    .vgpr_count:     31
    .vgpr_spill_count: 0
    .wavefront_size: 32
    .workgroup_processor_mode: 1
  - .args:
      - .offset:         0
        .size:           4
        .value_kind:     by_value
      - .offset:         8
        .size:           8
        .value_kind:     by_value
      - .actual_access:  read_only
        .address_space:  global
        .offset:         16
        .size:           8
        .value_kind:     global_buffer
      - .actual_access:  read_only
        .address_space:  global
        .offset:         24
        .size:           8
        .value_kind:     global_buffer
      - .address_space:  global
        .offset:         32
        .size:           8
        .value_kind:     global_buffer
      - .offset:         40
        .size:           1
        .value_kind:     by_value
    .group_segment_fixed_size: 2048
    .kernarg_segment_align: 8
    .kernarg_segment_size: 44
    .language:       OpenCL C
    .language_version:
      - 2
      - 0
    .max_flat_workgroup_size: 256
    .name:           _ZN9rocsparseL29coomvn_segmented_loops_reduceILj256EiffEEvT0_NS_24const_host_device_scalarIT2_EEPKS1_PKS3_PT1_b
    .private_segment_fixed_size: 0
    .sgpr_count:     21
    .sgpr_spill_count: 0
    .symbol:         _ZN9rocsparseL29coomvn_segmented_loops_reduceILj256EiffEEvT0_NS_24const_host_device_scalarIT2_EEPKS1_PKS3_PT1_b.kd
    .uniform_work_group_size: 1
    .uses_dynamic_stack: false
    .vgpr_count:     27
    .vgpr_spill_count: 0
    .wavefront_size: 32
    .workgroup_processor_mode: 1
  - .args:
      - .offset:         0
        .size:           8
        .value_kind:     by_value
      - .offset:         8
        .size:           8
        .value_kind:     by_value
      - .actual_access:  read_only
        .address_space:  global
        .offset:         16
        .size:           8
        .value_kind:     global_buffer
      - .actual_access:  read_only
        .address_space:  global
        .offset:         24
        .size:           8
        .value_kind:     global_buffer
      - .actual_access:  read_only
        .address_space:  global
        .offset:         32
        .size:           8
        .value_kind:     global_buffer
      - .address_space:  global
        .offset:         40
        .size:           8
        .value_kind:     global_buffer
      - .offset:         48
        .size:           4
        .value_kind:     by_value
      - .offset:         52
        .size:           1
        .value_kind:     by_value
    .group_segment_fixed_size: 3072
    .kernarg_segment_align: 8
    .kernarg_segment_size: 56
    .language:       OpenCL C
    .language_version:
      - 2
      - 0
    .max_flat_workgroup_size: 256
    .name:           _ZN9rocsparseL23coomvn_aos_atomic_loopsILj256ELj1ElffffEEvlNS_24const_host_device_scalarIT5_EEPKT1_PKT2_PKT3_PT4_21rocsparse_index_base_b
    .private_segment_fixed_size: 0
    .sgpr_count:     18
    .sgpr_spill_count: 0
    .symbol:         _ZN9rocsparseL23coomvn_aos_atomic_loopsILj256ELj1ElffffEEvlNS_24const_host_device_scalarIT5_EEPKT1_PKT2_PKT3_PT4_21rocsparse_index_base_b.kd
    .uniform_work_group_size: 1
    .uses_dynamic_stack: false
    .vgpr_count:     9
    .vgpr_spill_count: 0
    .wavefront_size: 32
    .workgroup_processor_mode: 1
  - .args:
      - .offset:         0
        .size:           4
        .value_kind:     by_value
      - .offset:         8
        .size:           8
        .value_kind:     by_value
      - .offset:         16
        .size:           8
        .value_kind:     by_value
      - .actual_access:  read_only
        .address_space:  global
        .offset:         24
        .size:           8
        .value_kind:     global_buffer
      - .actual_access:  read_only
        .address_space:  global
        .offset:         32
        .size:           8
        .value_kind:     global_buffer
      - .actual_access:  read_only
        .address_space:  global
        .offset:         40
        .size:           8
        .value_kind:     global_buffer
      - .address_space:  global
        .offset:         48
        .size:           8
        .value_kind:     global_buffer
      - .offset:         56
        .size:           4
        .value_kind:     by_value
      - .offset:         60
        .size:           1
        .value_kind:     by_value
      - .offset:         64
        .size:           4
        .value_kind:     hidden_block_count_x
      - .offset:         68
        .size:           4
        .value_kind:     hidden_block_count_y
      - .offset:         72
        .size:           4
        .value_kind:     hidden_block_count_z
      - .offset:         76
        .size:           2
        .value_kind:     hidden_group_size_x
      - .offset:         78
        .size:           2
        .value_kind:     hidden_group_size_y
      - .offset:         80
        .size:           2
        .value_kind:     hidden_group_size_z
      - .offset:         82
        .size:           2
        .value_kind:     hidden_remainder_x
      - .offset:         84
        .size:           2
        .value_kind:     hidden_remainder_y
      - .offset:         86
        .size:           2
        .value_kind:     hidden_remainder_z
      - .offset:         104
        .size:           8
        .value_kind:     hidden_global_offset_x
      - .offset:         112
        .size:           8
        .value_kind:     hidden_global_offset_y
      - .offset:         120
        .size:           8
        .value_kind:     hidden_global_offset_z
      - .offset:         128
        .size:           2
        .value_kind:     hidden_grid_dims
    .group_segment_fixed_size: 0
    .kernarg_segment_align: 8
    .kernarg_segment_size: 320
    .language:       OpenCL C
    .language_version:
      - 2
      - 0
    .max_flat_workgroup_size: 1024
    .name:           _ZN9rocsparseL17coomvt_aos_kernelILj1024ElffffEEv20rocsparse_operation_lNS_24const_host_device_scalarIT4_EEPKT0_PKT1_PKT2_PT3_21rocsparse_index_base_b
    .private_segment_fixed_size: 0
    .sgpr_count:     18
    .sgpr_spill_count: 0
    .symbol:         _ZN9rocsparseL17coomvt_aos_kernelILj1024ElffffEEv20rocsparse_operation_lNS_24const_host_device_scalarIT4_EEPKT0_PKT1_PKT2_PT3_21rocsparse_index_base_b.kd
    .uniform_work_group_size: 1
    .uses_dynamic_stack: false
    .vgpr_count:     7
    .vgpr_spill_count: 0
    .wavefront_size: 32
    .workgroup_processor_mode: 1
  - .args:
      - .offset:         0
        .size:           8
        .value_kind:     by_value
      - .offset:         8
        .size:           8
        .value_kind:     by_value
      - .offset:         16
        .size:           8
        .value_kind:     by_value
      - .actual_access:  read_only
        .address_space:  global
        .offset:         24
        .size:           8
        .value_kind:     global_buffer
      - .actual_access:  read_only
        .address_space:  global
        .offset:         32
        .size:           8
        .value_kind:     global_buffer
      - .actual_access:  read_only
        .address_space:  global
        .offset:         40
        .size:           8
        .value_kind:     global_buffer
      - .address_space:  global
        .offset:         48
        .size:           8
        .value_kind:     global_buffer
      - .actual_access:  write_only
        .address_space:  global
        .offset:         56
        .size:           8
        .value_kind:     global_buffer
      - .actual_access:  write_only
        .address_space:  global
        .offset:         64
        .size:           8
        .value_kind:     global_buffer
      - .offset:         72
        .size:           4
        .value_kind:     by_value
      - .offset:         76
        .size:           1
        .value_kind:     by_value
    .group_segment_fixed_size: 3072
    .kernarg_segment_align: 8
    .kernarg_segment_size: 80
    .language:       OpenCL C
    .language_version:
      - 2
      - 0
    .max_flat_workgroup_size: 256
    .name:           _ZN9rocsparseL26coomvn_aos_segmented_loopsILj256ElffffEEvlT0_NS_24const_host_device_scalarIT4_EEPKS1_PKT1_PKT2_PT3_PS1_PS3_21rocsparse_index_base_b
    .private_segment_fixed_size: 0
    .sgpr_count:     42
    .sgpr_spill_count: 0
    .symbol:         _ZN9rocsparseL26coomvn_aos_segmented_loopsILj256ElffffEEvlT0_NS_24const_host_device_scalarIT4_EEPKS1_PKT1_PKT2_PT3_PS1_PS3_21rocsparse_index_base_b.kd
    .uniform_work_group_size: 1
    .uses_dynamic_stack: false
    .vgpr_count:     35
    .vgpr_spill_count: 0
    .wavefront_size: 32
    .workgroup_processor_mode: 1
  - .args:
      - .offset:         0
        .size:           8
        .value_kind:     by_value
      - .offset:         8
        .size:           8
        .value_kind:     by_value
      - .actual_access:  read_only
        .address_space:  global
        .offset:         16
        .size:           8
        .value_kind:     global_buffer
      - .actual_access:  read_only
        .address_space:  global
        .offset:         24
        .size:           8
        .value_kind:     global_buffer
      - .address_space:  global
        .offset:         32
        .size:           8
        .value_kind:     global_buffer
      - .offset:         40
        .size:           1
        .value_kind:     by_value
    .group_segment_fixed_size: 3072
    .kernarg_segment_align: 8
    .kernarg_segment_size: 44
    .language:       OpenCL C
    .language_version:
      - 2
      - 0
    .max_flat_workgroup_size: 256
    .name:           _ZN9rocsparseL29coomvn_segmented_loops_reduceILj256ElffEEvT0_NS_24const_host_device_scalarIT2_EEPKS1_PKS3_PT1_b
    .private_segment_fixed_size: 0
    .sgpr_count:     22
    .sgpr_spill_count: 0
    .symbol:         _ZN9rocsparseL29coomvn_segmented_loops_reduceILj256ElffEEvT0_NS_24const_host_device_scalarIT2_EEPKS1_PKS3_PT1_b.kd
    .uniform_work_group_size: 1
    .uses_dynamic_stack: false
    .vgpr_count:     29
    .vgpr_spill_count: 0
    .wavefront_size: 32
    .workgroup_processor_mode: 1
  - .args:
      - .offset:         0
        .size:           8
        .value_kind:     by_value
      - .offset:         8
        .size:           8
        .value_kind:     by_value
      - .actual_access:  read_only
        .address_space:  global
        .offset:         16
        .size:           8
        .value_kind:     global_buffer
      - .actual_access:  read_only
        .address_space:  global
        .offset:         24
        .size:           8
        .value_kind:     global_buffer
      - .actual_access:  read_only
        .address_space:  global
        .offset:         32
        .size:           8
        .value_kind:     global_buffer
      - .address_space:  global
        .offset:         40
        .size:           8
        .value_kind:     global_buffer
      - .offset:         48
        .size:           4
        .value_kind:     by_value
      - .offset:         52
        .size:           1
        .value_kind:     by_value
    .group_segment_fixed_size: 3072
    .kernarg_segment_align: 8
    .kernarg_segment_size: 56
    .language:       OpenCL C
    .language_version:
      - 2
      - 0
    .max_flat_workgroup_size: 256
    .name:           _ZN9rocsparseL23coomvn_aos_atomic_loopsILj256ELj1EiddddEEvlNS_24const_host_device_scalarIT5_EEPKT1_PKT2_PKT3_PT4_21rocsparse_index_base_b
    .private_segment_fixed_size: 0
    .sgpr_count:     18
    .sgpr_spill_count: 0
    .symbol:         _ZN9rocsparseL23coomvn_aos_atomic_loopsILj256ELj1EiddddEEvlNS_24const_host_device_scalarIT5_EEPKT1_PKT2_PKT3_PT4_21rocsparse_index_base_b.kd
    .uniform_work_group_size: 1
    .uses_dynamic_stack: false
    .vgpr_count:     14
    .vgpr_spill_count: 0
    .wavefront_size: 32
    .workgroup_processor_mode: 1
  - .args:
      - .offset:         0
        .size:           4
        .value_kind:     by_value
      - .offset:         8
        .size:           8
        .value_kind:     by_value
      - .offset:         16
        .size:           8
        .value_kind:     by_value
      - .actual_access:  read_only
        .address_space:  global
        .offset:         24
        .size:           8
        .value_kind:     global_buffer
      - .actual_access:  read_only
        .address_space:  global
        .offset:         32
        .size:           8
        .value_kind:     global_buffer
      - .actual_access:  read_only
        .address_space:  global
        .offset:         40
        .size:           8
        .value_kind:     global_buffer
      - .address_space:  global
        .offset:         48
        .size:           8
        .value_kind:     global_buffer
      - .offset:         56
        .size:           4
        .value_kind:     by_value
      - .offset:         60
        .size:           1
        .value_kind:     by_value
      - .offset:         64
        .size:           4
        .value_kind:     hidden_block_count_x
      - .offset:         68
        .size:           4
        .value_kind:     hidden_block_count_y
      - .offset:         72
        .size:           4
        .value_kind:     hidden_block_count_z
      - .offset:         76
        .size:           2
        .value_kind:     hidden_group_size_x
      - .offset:         78
        .size:           2
        .value_kind:     hidden_group_size_y
      - .offset:         80
        .size:           2
        .value_kind:     hidden_group_size_z
      - .offset:         82
        .size:           2
        .value_kind:     hidden_remainder_x
      - .offset:         84
        .size:           2
        .value_kind:     hidden_remainder_y
      - .offset:         86
        .size:           2
        .value_kind:     hidden_remainder_z
      - .offset:         104
        .size:           8
        .value_kind:     hidden_global_offset_x
      - .offset:         112
        .size:           8
        .value_kind:     hidden_global_offset_y
      - .offset:         120
        .size:           8
        .value_kind:     hidden_global_offset_z
      - .offset:         128
        .size:           2
        .value_kind:     hidden_grid_dims
    .group_segment_fixed_size: 0
    .kernarg_segment_align: 8
    .kernarg_segment_size: 320
    .language:       OpenCL C
    .language_version:
      - 2
      - 0
    .max_flat_workgroup_size: 1024
    .name:           _ZN9rocsparseL17coomvt_aos_kernelILj1024EiddddEEv20rocsparse_operation_lNS_24const_host_device_scalarIT4_EEPKT0_PKT1_PKT2_PT3_21rocsparse_index_base_b
    .private_segment_fixed_size: 0
    .sgpr_count:     18
    .sgpr_spill_count: 0
    .symbol:         _ZN9rocsparseL17coomvt_aos_kernelILj1024EiddddEEv20rocsparse_operation_lNS_24const_host_device_scalarIT4_EEPKT0_PKT1_PKT2_PT3_21rocsparse_index_base_b.kd
    .uniform_work_group_size: 1
    .uses_dynamic_stack: false
    .vgpr_count:     10
    .vgpr_spill_count: 0
    .wavefront_size: 32
    .workgroup_processor_mode: 1
  - .args:
      - .offset:         0
        .size:           8
        .value_kind:     by_value
      - .offset:         8
        .size:           4
        .value_kind:     by_value
      - .offset:         16
        .size:           8
        .value_kind:     by_value
      - .actual_access:  read_only
        .address_space:  global
        .offset:         24
        .size:           8
        .value_kind:     global_buffer
      - .actual_access:  read_only
        .address_space:  global
        .offset:         32
        .size:           8
        .value_kind:     global_buffer
      - .actual_access:  read_only
        .address_space:  global
        .offset:         40
        .size:           8
        .value_kind:     global_buffer
      - .address_space:  global
        .offset:         48
        .size:           8
        .value_kind:     global_buffer
      - .actual_access:  write_only
        .address_space:  global
        .offset:         56
        .size:           8
        .value_kind:     global_buffer
      - .actual_access:  write_only
        .address_space:  global
        .offset:         64
        .size:           8
        .value_kind:     global_buffer
      - .offset:         72
        .size:           4
        .value_kind:     by_value
      - .offset:         76
        .size:           1
        .value_kind:     by_value
    .group_segment_fixed_size: 3072
    .kernarg_segment_align: 8
    .kernarg_segment_size: 80
    .language:       OpenCL C
    .language_version:
      - 2
      - 0
    .max_flat_workgroup_size: 256
    .name:           _ZN9rocsparseL26coomvn_aos_segmented_loopsILj256EiddddEEvlT0_NS_24const_host_device_scalarIT4_EEPKS1_PKT1_PKT2_PT3_PS1_PS3_21rocsparse_index_base_b
    .private_segment_fixed_size: 0
    .sgpr_count:     32
    .sgpr_spill_count: 0
    .symbol:         _ZN9rocsparseL26coomvn_aos_segmented_loopsILj256EiddddEEvlT0_NS_24const_host_device_scalarIT4_EEPKS1_PKT1_PKT2_PT3_PS1_PS3_21rocsparse_index_base_b.kd
    .uniform_work_group_size: 1
    .uses_dynamic_stack: false
    .vgpr_count:     36
    .vgpr_spill_count: 0
    .wavefront_size: 32
    .workgroup_processor_mode: 1
  - .args:
      - .offset:         0
        .size:           4
        .value_kind:     by_value
      - .offset:         8
        .size:           8
        .value_kind:     by_value
      - .actual_access:  read_only
        .address_space:  global
        .offset:         16
        .size:           8
        .value_kind:     global_buffer
      - .actual_access:  read_only
        .address_space:  global
        .offset:         24
        .size:           8
        .value_kind:     global_buffer
      - .address_space:  global
        .offset:         32
        .size:           8
        .value_kind:     global_buffer
      - .offset:         40
        .size:           1
        .value_kind:     by_value
    .group_segment_fixed_size: 3072
    .kernarg_segment_align: 8
    .kernarg_segment_size: 44
    .language:       OpenCL C
    .language_version:
      - 2
      - 0
    .max_flat_workgroup_size: 256
    .name:           _ZN9rocsparseL29coomvn_segmented_loops_reduceILj256EiddEEvT0_NS_24const_host_device_scalarIT2_EEPKS1_PKS3_PT1_b
    .private_segment_fixed_size: 0
    .sgpr_count:     21
    .sgpr_spill_count: 0
    .symbol:         _ZN9rocsparseL29coomvn_segmented_loops_reduceILj256EiddEEvT0_NS_24const_host_device_scalarIT2_EEPKS1_PKS3_PT1_b.kd
    .uniform_work_group_size: 1
    .uses_dynamic_stack: false
    .vgpr_count:     28
    .vgpr_spill_count: 0
    .wavefront_size: 32
    .workgroup_processor_mode: 1
  - .args:
      - .offset:         0
        .size:           8
        .value_kind:     by_value
      - .offset:         8
        .size:           8
        .value_kind:     by_value
      - .actual_access:  read_only
        .address_space:  global
        .offset:         16
        .size:           8
        .value_kind:     global_buffer
      - .actual_access:  read_only
        .address_space:  global
        .offset:         24
        .size:           8
        .value_kind:     global_buffer
      - .actual_access:  read_only
        .address_space:  global
        .offset:         32
        .size:           8
        .value_kind:     global_buffer
      - .address_space:  global
        .offset:         40
        .size:           8
        .value_kind:     global_buffer
      - .offset:         48
        .size:           4
        .value_kind:     by_value
      - .offset:         52
        .size:           1
        .value_kind:     by_value
    .group_segment_fixed_size: 4096
    .kernarg_segment_align: 8
    .kernarg_segment_size: 56
    .language:       OpenCL C
    .language_version:
      - 2
      - 0
    .max_flat_workgroup_size: 256
    .name:           _ZN9rocsparseL23coomvn_aos_atomic_loopsILj256ELj1ElddddEEvlNS_24const_host_device_scalarIT5_EEPKT1_PKT2_PKT3_PT4_21rocsparse_index_base_b
    .private_segment_fixed_size: 0
    .sgpr_count:     18
    .sgpr_spill_count: 0
    .symbol:         _ZN9rocsparseL23coomvn_aos_atomic_loopsILj256ELj1ElddddEEvlNS_24const_host_device_scalarIT5_EEPKT1_PKT2_PKT3_PT4_21rocsparse_index_base_b.kd
    .uniform_work_group_size: 1
    .uses_dynamic_stack: false
    .vgpr_count:     15
    .vgpr_spill_count: 0
    .wavefront_size: 32
    .workgroup_processor_mode: 1
  - .args:
      - .offset:         0
        .size:           4
        .value_kind:     by_value
      - .offset:         8
        .size:           8
        .value_kind:     by_value
      - .offset:         16
        .size:           8
        .value_kind:     by_value
      - .actual_access:  read_only
        .address_space:  global
        .offset:         24
        .size:           8
        .value_kind:     global_buffer
      - .actual_access:  read_only
        .address_space:  global
        .offset:         32
        .size:           8
        .value_kind:     global_buffer
      - .actual_access:  read_only
        .address_space:  global
        .offset:         40
        .size:           8
        .value_kind:     global_buffer
      - .address_space:  global
        .offset:         48
        .size:           8
        .value_kind:     global_buffer
      - .offset:         56
        .size:           4
        .value_kind:     by_value
      - .offset:         60
        .size:           1
        .value_kind:     by_value
      - .offset:         64
        .size:           4
        .value_kind:     hidden_block_count_x
      - .offset:         68
        .size:           4
        .value_kind:     hidden_block_count_y
      - .offset:         72
        .size:           4
        .value_kind:     hidden_block_count_z
      - .offset:         76
        .size:           2
        .value_kind:     hidden_group_size_x
      - .offset:         78
        .size:           2
        .value_kind:     hidden_group_size_y
      - .offset:         80
        .size:           2
        .value_kind:     hidden_group_size_z
      - .offset:         82
        .size:           2
        .value_kind:     hidden_remainder_x
      - .offset:         84
        .size:           2
        .value_kind:     hidden_remainder_y
      - .offset:         86
        .size:           2
        .value_kind:     hidden_remainder_z
      - .offset:         104
        .size:           8
        .value_kind:     hidden_global_offset_x
      - .offset:         112
        .size:           8
        .value_kind:     hidden_global_offset_y
      - .offset:         120
        .size:           8
        .value_kind:     hidden_global_offset_z
      - .offset:         128
        .size:           2
        .value_kind:     hidden_grid_dims
    .group_segment_fixed_size: 0
    .kernarg_segment_align: 8
    .kernarg_segment_size: 320
    .language:       OpenCL C
    .language_version:
      - 2
      - 0
    .max_flat_workgroup_size: 1024
    .name:           _ZN9rocsparseL17coomvt_aos_kernelILj1024ElddddEEv20rocsparse_operation_lNS_24const_host_device_scalarIT4_EEPKT0_PKT1_PKT2_PT3_21rocsparse_index_base_b
    .private_segment_fixed_size: 0
    .sgpr_count:     18
    .sgpr_spill_count: 0
    .symbol:         _ZN9rocsparseL17coomvt_aos_kernelILj1024ElddddEEv20rocsparse_operation_lNS_24const_host_device_scalarIT4_EEPKT0_PKT1_PKT2_PT3_21rocsparse_index_base_b.kd
    .uniform_work_group_size: 1
    .uses_dynamic_stack: false
    .vgpr_count:     12
    .vgpr_spill_count: 0
    .wavefront_size: 32
    .workgroup_processor_mode: 1
  - .args:
      - .offset:         0
        .size:           8
        .value_kind:     by_value
      - .offset:         8
        .size:           8
        .value_kind:     by_value
      - .offset:         16
        .size:           8
        .value_kind:     by_value
      - .actual_access:  read_only
        .address_space:  global
        .offset:         24
        .size:           8
        .value_kind:     global_buffer
      - .actual_access:  read_only
        .address_space:  global
        .offset:         32
        .size:           8
        .value_kind:     global_buffer
      - .actual_access:  read_only
        .address_space:  global
        .offset:         40
        .size:           8
        .value_kind:     global_buffer
      - .address_space:  global
        .offset:         48
        .size:           8
        .value_kind:     global_buffer
      - .actual_access:  write_only
        .address_space:  global
        .offset:         56
        .size:           8
        .value_kind:     global_buffer
      - .actual_access:  write_only
        .address_space:  global
        .offset:         64
        .size:           8
        .value_kind:     global_buffer
      - .offset:         72
        .size:           4
        .value_kind:     by_value
      - .offset:         76
        .size:           1
        .value_kind:     by_value
    .group_segment_fixed_size: 4096
    .kernarg_segment_align: 8
    .kernarg_segment_size: 80
    .language:       OpenCL C
    .language_version:
      - 2
      - 0
    .max_flat_workgroup_size: 256
    .name:           _ZN9rocsparseL26coomvn_aos_segmented_loopsILj256ElddddEEvlT0_NS_24const_host_device_scalarIT4_EEPKS1_PKT1_PKT2_PT3_PS1_PS3_21rocsparse_index_base_b
    .private_segment_fixed_size: 0
    .sgpr_count:     40
    .sgpr_spill_count: 0
    .symbol:         _ZN9rocsparseL26coomvn_aos_segmented_loopsILj256ElddddEEvlT0_NS_24const_host_device_scalarIT4_EEPKS1_PKT1_PKT2_PT3_PS1_PS3_21rocsparse_index_base_b.kd
    .uniform_work_group_size: 1
    .uses_dynamic_stack: false
    .vgpr_count:     38
    .vgpr_spill_count: 0
    .wavefront_size: 32
    .workgroup_processor_mode: 1
  - .args:
      - .offset:         0
        .size:           8
        .value_kind:     by_value
      - .offset:         8
        .size:           8
        .value_kind:     by_value
      - .actual_access:  read_only
        .address_space:  global
        .offset:         16
        .size:           8
        .value_kind:     global_buffer
      - .actual_access:  read_only
        .address_space:  global
        .offset:         24
        .size:           8
        .value_kind:     global_buffer
      - .address_space:  global
        .offset:         32
        .size:           8
        .value_kind:     global_buffer
      - .offset:         40
        .size:           1
        .value_kind:     by_value
    .group_segment_fixed_size: 4096
    .kernarg_segment_align: 8
    .kernarg_segment_size: 44
    .language:       OpenCL C
    .language_version:
      - 2
      - 0
    .max_flat_workgroup_size: 256
    .name:           _ZN9rocsparseL29coomvn_segmented_loops_reduceILj256ElddEEvT0_NS_24const_host_device_scalarIT2_EEPKS1_PKS3_PT1_b
    .private_segment_fixed_size: 0
    .sgpr_count:     22
    .sgpr_spill_count: 0
    .symbol:         _ZN9rocsparseL29coomvn_segmented_loops_reduceILj256ElddEEvT0_NS_24const_host_device_scalarIT2_EEPKS1_PKS3_PT1_b.kd
    .uniform_work_group_size: 1
    .uses_dynamic_stack: false
    .vgpr_count:     29
    .vgpr_spill_count: 0
    .wavefront_size: 32
    .workgroup_processor_mode: 1
  - .args:
      - .offset:         0
        .size:           8
        .value_kind:     by_value
      - .offset:         8
        .size:           8
        .value_kind:     by_value
      - .actual_access:  read_only
        .address_space:  global
        .offset:         16
        .size:           8
        .value_kind:     global_buffer
      - .actual_access:  read_only
        .address_space:  global
        .offset:         24
        .size:           8
        .value_kind:     global_buffer
      - .actual_access:  read_only
        .address_space:  global
        .offset:         32
        .size:           8
        .value_kind:     global_buffer
      - .address_space:  global
        .offset:         40
        .size:           8
        .value_kind:     global_buffer
      - .offset:         48
        .size:           4
        .value_kind:     by_value
      - .offset:         52
        .size:           1
        .value_kind:     by_value
    .group_segment_fixed_size: 3072
    .kernarg_segment_align: 8
    .kernarg_segment_size: 56
    .language:       OpenCL C
    .language_version:
      - 2
      - 0
    .max_flat_workgroup_size: 256
    .name:           _ZN9rocsparseL23coomvn_aos_atomic_loopsILj256ELj1Ei21rocsparse_complex_numIfES2_S2_S2_EEvlNS_24const_host_device_scalarIT5_EEPKT1_PKT2_PKT3_PT4_21rocsparse_index_base_b
    .private_segment_fixed_size: 0
    .sgpr_count:     18
    .sgpr_spill_count: 0
    .symbol:         _ZN9rocsparseL23coomvn_aos_atomic_loopsILj256ELj1Ei21rocsparse_complex_numIfES2_S2_S2_EEvlNS_24const_host_device_scalarIT5_EEPKT1_PKT2_PKT3_PT4_21rocsparse_index_base_b.kd
    .uniform_work_group_size: 1
    .uses_dynamic_stack: false
    .vgpr_count:     11
    .vgpr_spill_count: 0
    .wavefront_size: 32
    .workgroup_processor_mode: 1
  - .args:
      - .offset:         0
        .size:           4
        .value_kind:     by_value
      - .offset:         8
        .size:           8
        .value_kind:     by_value
      - .offset:         16
        .size:           8
        .value_kind:     by_value
      - .actual_access:  read_only
        .address_space:  global
        .offset:         24
        .size:           8
        .value_kind:     global_buffer
      - .actual_access:  read_only
        .address_space:  global
        .offset:         32
        .size:           8
        .value_kind:     global_buffer
      - .actual_access:  read_only
        .address_space:  global
        .offset:         40
        .size:           8
        .value_kind:     global_buffer
      - .address_space:  global
        .offset:         48
        .size:           8
        .value_kind:     global_buffer
      - .offset:         56
        .size:           4
        .value_kind:     by_value
      - .offset:         60
        .size:           1
        .value_kind:     by_value
      - .offset:         64
        .size:           4
        .value_kind:     hidden_block_count_x
      - .offset:         68
        .size:           4
        .value_kind:     hidden_block_count_y
      - .offset:         72
        .size:           4
        .value_kind:     hidden_block_count_z
      - .offset:         76
        .size:           2
        .value_kind:     hidden_group_size_x
      - .offset:         78
        .size:           2
        .value_kind:     hidden_group_size_y
      - .offset:         80
        .size:           2
        .value_kind:     hidden_group_size_z
      - .offset:         82
        .size:           2
        .value_kind:     hidden_remainder_x
      - .offset:         84
        .size:           2
        .value_kind:     hidden_remainder_y
      - .offset:         86
        .size:           2
        .value_kind:     hidden_remainder_z
      - .offset:         104
        .size:           8
        .value_kind:     hidden_global_offset_x
      - .offset:         112
        .size:           8
        .value_kind:     hidden_global_offset_y
      - .offset:         120
        .size:           8
        .value_kind:     hidden_global_offset_z
      - .offset:         128
        .size:           2
        .value_kind:     hidden_grid_dims
    .group_segment_fixed_size: 0
    .kernarg_segment_align: 8
    .kernarg_segment_size: 320
    .language:       OpenCL C
    .language_version:
      - 2
      - 0
    .max_flat_workgroup_size: 1024
    .name:           _ZN9rocsparseL17coomvt_aos_kernelILj1024Ei21rocsparse_complex_numIfES2_S2_S2_EEv20rocsparse_operation_lNS_24const_host_device_scalarIT4_EEPKT0_PKT1_PKT2_PT3_21rocsparse_index_base_b
    .private_segment_fixed_size: 0
    .sgpr_count:     18
    .sgpr_spill_count: 0
    .symbol:         _ZN9rocsparseL17coomvt_aos_kernelILj1024Ei21rocsparse_complex_numIfES2_S2_S2_EEv20rocsparse_operation_lNS_24const_host_device_scalarIT4_EEPKT0_PKT1_PKT2_PT3_21rocsparse_index_base_b.kd
    .uniform_work_group_size: 1
    .uses_dynamic_stack: false
    .vgpr_count:     11
    .vgpr_spill_count: 0
    .wavefront_size: 32
    .workgroup_processor_mode: 1
  - .args:
      - .offset:         0
        .size:           8
        .value_kind:     by_value
      - .offset:         8
        .size:           4
        .value_kind:     by_value
      - .offset:         16
        .size:           8
        .value_kind:     by_value
      - .actual_access:  read_only
        .address_space:  global
        .offset:         24
        .size:           8
        .value_kind:     global_buffer
      - .actual_access:  read_only
        .address_space:  global
        .offset:         32
        .size:           8
        .value_kind:     global_buffer
      - .actual_access:  read_only
        .address_space:  global
        .offset:         40
        .size:           8
        .value_kind:     global_buffer
      - .address_space:  global
        .offset:         48
        .size:           8
        .value_kind:     global_buffer
      - .actual_access:  write_only
        .address_space:  global
        .offset:         56
        .size:           8
        .value_kind:     global_buffer
      - .actual_access:  write_only
        .address_space:  global
        .offset:         64
        .size:           8
        .value_kind:     global_buffer
      - .offset:         72
        .size:           4
        .value_kind:     by_value
      - .offset:         76
        .size:           1
        .value_kind:     by_value
    .group_segment_fixed_size: 3072
    .kernarg_segment_align: 8
    .kernarg_segment_size: 80
    .language:       OpenCL C
    .language_version:
      - 2
      - 0
    .max_flat_workgroup_size: 256
    .name:           _ZN9rocsparseL26coomvn_aos_segmented_loopsILj256Ei21rocsparse_complex_numIfES2_S2_S2_EEvlT0_NS_24const_host_device_scalarIT4_EEPKS3_PKT1_PKT2_PT3_PS3_PS5_21rocsparse_index_base_b
    .private_segment_fixed_size: 0
    .sgpr_count:     32
    .sgpr_spill_count: 0
    .symbol:         _ZN9rocsparseL26coomvn_aos_segmented_loopsILj256Ei21rocsparse_complex_numIfES2_S2_S2_EEvlT0_NS_24const_host_device_scalarIT4_EEPKS3_PKT1_PKT2_PT3_PS3_PS5_21rocsparse_index_base_b.kd
    .uniform_work_group_size: 1
    .uses_dynamic_stack: false
    .vgpr_count:     37
    .vgpr_spill_count: 0
    .wavefront_size: 32
    .workgroup_processor_mode: 1
  - .args:
      - .offset:         0
        .size:           4
        .value_kind:     by_value
      - .offset:         8
        .size:           8
        .value_kind:     by_value
      - .actual_access:  read_only
        .address_space:  global
        .offset:         16
        .size:           8
        .value_kind:     global_buffer
      - .actual_access:  read_only
        .address_space:  global
        .offset:         24
        .size:           8
        .value_kind:     global_buffer
      - .address_space:  global
        .offset:         32
        .size:           8
        .value_kind:     global_buffer
      - .offset:         40
        .size:           1
        .value_kind:     by_value
    .group_segment_fixed_size: 3072
    .kernarg_segment_align: 8
    .kernarg_segment_size: 44
    .language:       OpenCL C
    .language_version:
      - 2
      - 0
    .max_flat_workgroup_size: 256
    .name:           _ZN9rocsparseL29coomvn_segmented_loops_reduceILj256Ei21rocsparse_complex_numIfES2_EEvT0_NS_24const_host_device_scalarIT2_EEPKS3_PKS5_PT1_b
    .private_segment_fixed_size: 0
    .sgpr_count:     21
    .sgpr_spill_count: 0
    .symbol:         _ZN9rocsparseL29coomvn_segmented_loops_reduceILj256Ei21rocsparse_complex_numIfES2_EEvT0_NS_24const_host_device_scalarIT2_EEPKS3_PKS5_PT1_b.kd
    .uniform_work_group_size: 1
    .uses_dynamic_stack: false
    .vgpr_count:     27
    .vgpr_spill_count: 0
    .wavefront_size: 32
    .workgroup_processor_mode: 1
  - .args:
      - .offset:         0
        .size:           8
        .value_kind:     by_value
      - .offset:         8
        .size:           8
        .value_kind:     by_value
      - .actual_access:  read_only
        .address_space:  global
        .offset:         16
        .size:           8
        .value_kind:     global_buffer
      - .actual_access:  read_only
        .address_space:  global
        .offset:         24
        .size:           8
        .value_kind:     global_buffer
      - .actual_access:  read_only
        .address_space:  global
        .offset:         32
        .size:           8
        .value_kind:     global_buffer
      - .address_space:  global
        .offset:         40
        .size:           8
        .value_kind:     global_buffer
      - .offset:         48
        .size:           4
        .value_kind:     by_value
      - .offset:         52
        .size:           1
        .value_kind:     by_value
    .group_segment_fixed_size: 4096
    .kernarg_segment_align: 8
    .kernarg_segment_size: 56
    .language:       OpenCL C
    .language_version:
      - 2
      - 0
    .max_flat_workgroup_size: 256
    .name:           _ZN9rocsparseL23coomvn_aos_atomic_loopsILj256ELj1El21rocsparse_complex_numIfES2_S2_S2_EEvlNS_24const_host_device_scalarIT5_EEPKT1_PKT2_PKT3_PT4_21rocsparse_index_base_b
    .private_segment_fixed_size: 0
    .sgpr_count:     18
    .sgpr_spill_count: 0
    .symbol:         _ZN9rocsparseL23coomvn_aos_atomic_loopsILj256ELj1El21rocsparse_complex_numIfES2_S2_S2_EEvlNS_24const_host_device_scalarIT5_EEPKT1_PKT2_PKT3_PT4_21rocsparse_index_base_b.kd
    .uniform_work_group_size: 1
    .uses_dynamic_stack: false
    .vgpr_count:     15
    .vgpr_spill_count: 0
    .wavefront_size: 32
    .workgroup_processor_mode: 1
  - .args:
      - .offset:         0
        .size:           4
        .value_kind:     by_value
      - .offset:         8
        .size:           8
        .value_kind:     by_value
      - .offset:         16
        .size:           8
        .value_kind:     by_value
      - .actual_access:  read_only
        .address_space:  global
        .offset:         24
        .size:           8
        .value_kind:     global_buffer
      - .actual_access:  read_only
        .address_space:  global
        .offset:         32
        .size:           8
        .value_kind:     global_buffer
      - .actual_access:  read_only
        .address_space:  global
        .offset:         40
        .size:           8
        .value_kind:     global_buffer
      - .address_space:  global
        .offset:         48
        .size:           8
        .value_kind:     global_buffer
      - .offset:         56
        .size:           4
        .value_kind:     by_value
      - .offset:         60
        .size:           1
        .value_kind:     by_value
      - .offset:         64
        .size:           4
        .value_kind:     hidden_block_count_x
      - .offset:         68
        .size:           4
        .value_kind:     hidden_block_count_y
      - .offset:         72
        .size:           4
        .value_kind:     hidden_block_count_z
      - .offset:         76
        .size:           2
        .value_kind:     hidden_group_size_x
      - .offset:         78
        .size:           2
        .value_kind:     hidden_group_size_y
      - .offset:         80
        .size:           2
        .value_kind:     hidden_group_size_z
      - .offset:         82
        .size:           2
        .value_kind:     hidden_remainder_x
      - .offset:         84
        .size:           2
        .value_kind:     hidden_remainder_y
      - .offset:         86
        .size:           2
        .value_kind:     hidden_remainder_z
      - .offset:         104
        .size:           8
        .value_kind:     hidden_global_offset_x
      - .offset:         112
        .size:           8
        .value_kind:     hidden_global_offset_y
      - .offset:         120
        .size:           8
        .value_kind:     hidden_global_offset_z
      - .offset:         128
        .size:           2
        .value_kind:     hidden_grid_dims
    .group_segment_fixed_size: 0
    .kernarg_segment_align: 8
    .kernarg_segment_size: 320
    .language:       OpenCL C
    .language_version:
      - 2
      - 0
    .max_flat_workgroup_size: 1024
    .name:           _ZN9rocsparseL17coomvt_aos_kernelILj1024El21rocsparse_complex_numIfES2_S2_S2_EEv20rocsparse_operation_lNS_24const_host_device_scalarIT4_EEPKT0_PKT1_PKT2_PT3_21rocsparse_index_base_b
    .private_segment_fixed_size: 0
    .sgpr_count:     18
    .sgpr_spill_count: 0
    .symbol:         _ZN9rocsparseL17coomvt_aos_kernelILj1024El21rocsparse_complex_numIfES2_S2_S2_EEv20rocsparse_operation_lNS_24const_host_device_scalarIT4_EEPKT0_PKT1_PKT2_PT3_21rocsparse_index_base_b.kd
    .uniform_work_group_size: 1
    .uses_dynamic_stack: false
    .vgpr_count:     13
    .vgpr_spill_count: 0
    .wavefront_size: 32
    .workgroup_processor_mode: 1
  - .args:
      - .offset:         0
        .size:           8
        .value_kind:     by_value
      - .offset:         8
        .size:           8
        .value_kind:     by_value
      - .offset:         16
        .size:           8
        .value_kind:     by_value
      - .actual_access:  read_only
        .address_space:  global
        .offset:         24
        .size:           8
        .value_kind:     global_buffer
      - .actual_access:  read_only
        .address_space:  global
        .offset:         32
        .size:           8
        .value_kind:     global_buffer
      - .actual_access:  read_only
        .address_space:  global
        .offset:         40
        .size:           8
        .value_kind:     global_buffer
      - .address_space:  global
        .offset:         48
        .size:           8
        .value_kind:     global_buffer
      - .actual_access:  write_only
        .address_space:  global
        .offset:         56
        .size:           8
        .value_kind:     global_buffer
      - .actual_access:  write_only
        .address_space:  global
        .offset:         64
        .size:           8
        .value_kind:     global_buffer
      - .offset:         72
        .size:           4
        .value_kind:     by_value
      - .offset:         76
        .size:           1
        .value_kind:     by_value
    .group_segment_fixed_size: 4096
    .kernarg_segment_align: 8
    .kernarg_segment_size: 80
    .language:       OpenCL C
    .language_version:
      - 2
      - 0
    .max_flat_workgroup_size: 256
    .name:           _ZN9rocsparseL26coomvn_aos_segmented_loopsILj256El21rocsparse_complex_numIfES2_S2_S2_EEvlT0_NS_24const_host_device_scalarIT4_EEPKS3_PKT1_PKT2_PT3_PS3_PS5_21rocsparse_index_base_b
    .private_segment_fixed_size: 0
    .sgpr_count:     40
    .sgpr_spill_count: 0
    .symbol:         _ZN9rocsparseL26coomvn_aos_segmented_loopsILj256El21rocsparse_complex_numIfES2_S2_S2_EEvlT0_NS_24const_host_device_scalarIT4_EEPKS3_PKT1_PKT2_PT3_PS3_PS5_21rocsparse_index_base_b.kd
    .uniform_work_group_size: 1
    .uses_dynamic_stack: false
    .vgpr_count:     38
    .vgpr_spill_count: 0
    .wavefront_size: 32
    .workgroup_processor_mode: 1
  - .args:
      - .offset:         0
        .size:           8
        .value_kind:     by_value
      - .offset:         8
        .size:           8
        .value_kind:     by_value
      - .actual_access:  read_only
        .address_space:  global
        .offset:         16
        .size:           8
        .value_kind:     global_buffer
      - .actual_access:  read_only
        .address_space:  global
        .offset:         24
        .size:           8
        .value_kind:     global_buffer
      - .address_space:  global
        .offset:         32
        .size:           8
        .value_kind:     global_buffer
      - .offset:         40
        .size:           1
        .value_kind:     by_value
    .group_segment_fixed_size: 4096
    .kernarg_segment_align: 8
    .kernarg_segment_size: 44
    .language:       OpenCL C
    .language_version:
      - 2
      - 0
    .max_flat_workgroup_size: 256
    .name:           _ZN9rocsparseL29coomvn_segmented_loops_reduceILj256El21rocsparse_complex_numIfES2_EEvT0_NS_24const_host_device_scalarIT2_EEPKS3_PKS5_PT1_b
    .private_segment_fixed_size: 0
    .sgpr_count:     22
    .sgpr_spill_count: 0
    .symbol:         _ZN9rocsparseL29coomvn_segmented_loops_reduceILj256El21rocsparse_complex_numIfES2_EEvT0_NS_24const_host_device_scalarIT2_EEPKS3_PKS5_PT1_b.kd
    .uniform_work_group_size: 1
    .uses_dynamic_stack: false
    .vgpr_count:     31
    .vgpr_spill_count: 0
    .wavefront_size: 32
    .workgroup_processor_mode: 1
  - .args:
      - .offset:         0
        .size:           8
        .value_kind:     by_value
      - .offset:         8
        .size:           16
        .value_kind:     by_value
      - .actual_access:  read_only
        .address_space:  global
        .offset:         24
        .size:           8
        .value_kind:     global_buffer
      - .actual_access:  read_only
        .address_space:  global
        .offset:         32
        .size:           8
        .value_kind:     global_buffer
      - .actual_access:  read_only
        .address_space:  global
        .offset:         40
        .size:           8
        .value_kind:     global_buffer
      - .address_space:  global
        .offset:         48
        .size:           8
        .value_kind:     global_buffer
      - .offset:         56
        .size:           4
        .value_kind:     by_value
      - .offset:         60
        .size:           1
        .value_kind:     by_value
    .group_segment_fixed_size: 7168
    .kernarg_segment_align: 8
    .kernarg_segment_size: 64
    .language:       OpenCL C
    .language_version:
      - 2
      - 0
    .max_flat_workgroup_size: 256
    .name:           _ZN9rocsparseL23coomvn_aos_atomic_loopsILj256ELj1Ei21rocsparse_complex_numIdES2_S2_S2_EEvlNS_24const_host_device_scalarIT5_EEPKT1_PKT2_PKT3_PT4_21rocsparse_index_base_b
    .private_segment_fixed_size: 0
    .sgpr_count:     18
    .sgpr_spill_count: 0
    .symbol:         _ZN9rocsparseL23coomvn_aos_atomic_loopsILj256ELj1Ei21rocsparse_complex_numIdES2_S2_S2_EEvlNS_24const_host_device_scalarIT5_EEPKT1_PKT2_PKT3_PT4_21rocsparse_index_base_b.kd
    .uniform_work_group_size: 1
    .uses_dynamic_stack: false
    .vgpr_count:     18
    .vgpr_spill_count: 0
    .wavefront_size: 32
    .workgroup_processor_mode: 1
  - .args:
      - .offset:         0
        .size:           4
        .value_kind:     by_value
      - .offset:         8
        .size:           8
        .value_kind:     by_value
      - .offset:         16
        .size:           16
        .value_kind:     by_value
      - .actual_access:  read_only
        .address_space:  global
        .offset:         32
        .size:           8
        .value_kind:     global_buffer
      - .actual_access:  read_only
        .address_space:  global
        .offset:         40
        .size:           8
        .value_kind:     global_buffer
      - .actual_access:  read_only
        .address_space:  global
        .offset:         48
        .size:           8
        .value_kind:     global_buffer
      - .address_space:  global
        .offset:         56
        .size:           8
        .value_kind:     global_buffer
      - .offset:         64
        .size:           4
        .value_kind:     by_value
      - .offset:         68
        .size:           1
        .value_kind:     by_value
      - .offset:         72
        .size:           4
        .value_kind:     hidden_block_count_x
      - .offset:         76
        .size:           4
        .value_kind:     hidden_block_count_y
      - .offset:         80
        .size:           4
        .value_kind:     hidden_block_count_z
      - .offset:         84
        .size:           2
        .value_kind:     hidden_group_size_x
      - .offset:         86
        .size:           2
        .value_kind:     hidden_group_size_y
      - .offset:         88
        .size:           2
        .value_kind:     hidden_group_size_z
      - .offset:         90
        .size:           2
        .value_kind:     hidden_remainder_x
      - .offset:         92
        .size:           2
        .value_kind:     hidden_remainder_y
      - .offset:         94
        .size:           2
        .value_kind:     hidden_remainder_z
      - .offset:         112
        .size:           8
        .value_kind:     hidden_global_offset_x
      - .offset:         120
        .size:           8
        .value_kind:     hidden_global_offset_y
      - .offset:         128
        .size:           8
        .value_kind:     hidden_global_offset_z
      - .offset:         136
        .size:           2
        .value_kind:     hidden_grid_dims
    .group_segment_fixed_size: 8192
    .kernarg_segment_align: 8
    .kernarg_segment_size: 328
    .language:       OpenCL C
    .language_version:
      - 2
      - 0
    .max_flat_workgroup_size: 1024
    .name:           _ZN9rocsparseL17coomvt_aos_kernelILj1024Ei21rocsparse_complex_numIdES2_S2_S2_EEv20rocsparse_operation_lNS_24const_host_device_scalarIT4_EEPKT0_PKT1_PKT2_PT3_21rocsparse_index_base_b
    .private_segment_fixed_size: 0
    .sgpr_count:     18
    .sgpr_spill_count: 0
    .symbol:         _ZN9rocsparseL17coomvt_aos_kernelILj1024Ei21rocsparse_complex_numIdES2_S2_S2_EEv20rocsparse_operation_lNS_24const_host_device_scalarIT4_EEPKT0_PKT1_PKT2_PT3_21rocsparse_index_base_b.kd
    .uniform_work_group_size: 1
    .uses_dynamic_stack: false
    .vgpr_count:     18
    .vgpr_spill_count: 0
    .wavefront_size: 32
    .workgroup_processor_mode: 1
  - .args:
      - .offset:         0
        .size:           8
        .value_kind:     by_value
      - .offset:         8
        .size:           4
        .value_kind:     by_value
      - .offset:         16
        .size:           16
        .value_kind:     by_value
      - .actual_access:  read_only
        .address_space:  global
        .offset:         32
        .size:           8
        .value_kind:     global_buffer
      - .actual_access:  read_only
        .address_space:  global
        .offset:         40
        .size:           8
        .value_kind:     global_buffer
      - .actual_access:  read_only
        .address_space:  global
        .offset:         48
        .size:           8
        .value_kind:     global_buffer
      - .address_space:  global
        .offset:         56
        .size:           8
        .value_kind:     global_buffer
      - .actual_access:  write_only
        .address_space:  global
        .offset:         64
        .size:           8
        .value_kind:     global_buffer
      - .actual_access:  write_only
        .address_space:  global
        .offset:         72
        .size:           8
        .value_kind:     global_buffer
      - .offset:         80
        .size:           4
        .value_kind:     by_value
      - .offset:         84
        .size:           1
        .value_kind:     by_value
    .group_segment_fixed_size: 7168
    .kernarg_segment_align: 8
    .kernarg_segment_size: 88
    .language:       OpenCL C
    .language_version:
      - 2
      - 0
    .max_flat_workgroup_size: 256
    .name:           _ZN9rocsparseL26coomvn_aos_segmented_loopsILj256Ei21rocsparse_complex_numIdES2_S2_S2_EEvlT0_NS_24const_host_device_scalarIT4_EEPKS3_PKT1_PKT2_PT3_PS3_PS5_21rocsparse_index_base_b
    .private_segment_fixed_size: 0
    .sgpr_count:     32
    .sgpr_spill_count: 0
    .symbol:         _ZN9rocsparseL26coomvn_aos_segmented_loopsILj256Ei21rocsparse_complex_numIdES2_S2_S2_EEvlT0_NS_24const_host_device_scalarIT4_EEPKS3_PKT1_PKT2_PT3_PS3_PS5_21rocsparse_index_base_b.kd
    .uniform_work_group_size: 1
    .uses_dynamic_stack: false
    .vgpr_count:     43
    .vgpr_spill_count: 0
    .wavefront_size: 32
    .workgroup_processor_mode: 1
  - .args:
      - .offset:         0
        .size:           4
        .value_kind:     by_value
      - .offset:         8
        .size:           16
        .value_kind:     by_value
      - .actual_access:  read_only
        .address_space:  global
        .offset:         24
        .size:           8
        .value_kind:     global_buffer
      - .actual_access:  read_only
        .address_space:  global
        .offset:         32
        .size:           8
        .value_kind:     global_buffer
      - .address_space:  global
        .offset:         40
        .size:           8
        .value_kind:     global_buffer
      - .offset:         48
        .size:           1
        .value_kind:     by_value
    .group_segment_fixed_size: 7168
    .kernarg_segment_align: 8
    .kernarg_segment_size: 52
    .language:       OpenCL C
    .language_version:
      - 2
      - 0
    .max_flat_workgroup_size: 256
    .name:           _ZN9rocsparseL29coomvn_segmented_loops_reduceILj256Ei21rocsparse_complex_numIdES2_EEvT0_NS_24const_host_device_scalarIT2_EEPKS3_PKS5_PT1_b
    .private_segment_fixed_size: 0
    .sgpr_count:     21
    .sgpr_spill_count: 0
    .symbol:         _ZN9rocsparseL29coomvn_segmented_loops_reduceILj256Ei21rocsparse_complex_numIdES2_EEvT0_NS_24const_host_device_scalarIT2_EEPKS3_PKS5_PT1_b.kd
    .uniform_work_group_size: 1
    .uses_dynamic_stack: false
    .vgpr_count:     32
    .vgpr_spill_count: 0
    .wavefront_size: 32
    .workgroup_processor_mode: 1
  - .args:
      - .offset:         0
        .size:           8
        .value_kind:     by_value
      - .offset:         8
        .size:           16
        .value_kind:     by_value
      - .actual_access:  read_only
        .address_space:  global
        .offset:         24
        .size:           8
        .value_kind:     global_buffer
      - .actual_access:  read_only
        .address_space:  global
        .offset:         32
        .size:           8
        .value_kind:     global_buffer
      - .actual_access:  read_only
        .address_space:  global
        .offset:         40
        .size:           8
        .value_kind:     global_buffer
      - .address_space:  global
        .offset:         48
        .size:           8
        .value_kind:     global_buffer
      - .offset:         56
        .size:           4
        .value_kind:     by_value
      - .offset:         60
        .size:           1
        .value_kind:     by_value
    .group_segment_fixed_size: 8192
    .kernarg_segment_align: 8
    .kernarg_segment_size: 64
    .language:       OpenCL C
    .language_version:
      - 2
      - 0
    .max_flat_workgroup_size: 256
    .name:           _ZN9rocsparseL23coomvn_aos_atomic_loopsILj256ELj1El21rocsparse_complex_numIdES2_S2_S2_EEvlNS_24const_host_device_scalarIT5_EEPKT1_PKT2_PKT3_PT4_21rocsparse_index_base_b
    .private_segment_fixed_size: 0
    .sgpr_count:     18
    .sgpr_spill_count: 0
    .symbol:         _ZN9rocsparseL23coomvn_aos_atomic_loopsILj256ELj1El21rocsparse_complex_numIdES2_S2_S2_EEvlNS_24const_host_device_scalarIT5_EEPKT1_PKT2_PKT3_PT4_21rocsparse_index_base_b.kd
    .uniform_work_group_size: 1
    .uses_dynamic_stack: false
    .vgpr_count:     19
    .vgpr_spill_count: 0
    .wavefront_size: 32
    .workgroup_processor_mode: 1
  - .args:
      - .offset:         0
        .size:           4
        .value_kind:     by_value
      - .offset:         8
        .size:           8
        .value_kind:     by_value
      - .offset:         16
        .size:           16
        .value_kind:     by_value
      - .actual_access:  read_only
        .address_space:  global
        .offset:         32
        .size:           8
        .value_kind:     global_buffer
      - .actual_access:  read_only
        .address_space:  global
        .offset:         40
        .size:           8
        .value_kind:     global_buffer
      - .actual_access:  read_only
        .address_space:  global
        .offset:         48
        .size:           8
        .value_kind:     global_buffer
      - .address_space:  global
        .offset:         56
        .size:           8
        .value_kind:     global_buffer
      - .offset:         64
        .size:           4
        .value_kind:     by_value
      - .offset:         68
        .size:           1
        .value_kind:     by_value
      - .offset:         72
        .size:           4
        .value_kind:     hidden_block_count_x
      - .offset:         76
        .size:           4
        .value_kind:     hidden_block_count_y
      - .offset:         80
        .size:           4
        .value_kind:     hidden_block_count_z
      - .offset:         84
        .size:           2
        .value_kind:     hidden_group_size_x
      - .offset:         86
        .size:           2
        .value_kind:     hidden_group_size_y
      - .offset:         88
        .size:           2
        .value_kind:     hidden_group_size_z
      - .offset:         90
        .size:           2
        .value_kind:     hidden_remainder_x
      - .offset:         92
        .size:           2
        .value_kind:     hidden_remainder_y
      - .offset:         94
        .size:           2
        .value_kind:     hidden_remainder_z
      - .offset:         112
        .size:           8
        .value_kind:     hidden_global_offset_x
      - .offset:         120
        .size:           8
        .value_kind:     hidden_global_offset_y
      - .offset:         128
        .size:           8
        .value_kind:     hidden_global_offset_z
      - .offset:         136
        .size:           2
        .value_kind:     hidden_grid_dims
    .group_segment_fixed_size: 8192
    .kernarg_segment_align: 8
    .kernarg_segment_size: 328
    .language:       OpenCL C
    .language_version:
      - 2
      - 0
    .max_flat_workgroup_size: 1024
    .name:           _ZN9rocsparseL17coomvt_aos_kernelILj1024El21rocsparse_complex_numIdES2_S2_S2_EEv20rocsparse_operation_lNS_24const_host_device_scalarIT4_EEPKT0_PKT1_PKT2_PT3_21rocsparse_index_base_b
    .private_segment_fixed_size: 0
    .sgpr_count:     18
    .sgpr_spill_count: 0
    .symbol:         _ZN9rocsparseL17coomvt_aos_kernelILj1024El21rocsparse_complex_numIdES2_S2_S2_EEv20rocsparse_operation_lNS_24const_host_device_scalarIT4_EEPKT0_PKT1_PKT2_PT3_21rocsparse_index_base_b.kd
    .uniform_work_group_size: 1
    .uses_dynamic_stack: false
    .vgpr_count:     18
    .vgpr_spill_count: 0
    .wavefront_size: 32
    .workgroup_processor_mode: 1
  - .args:
      - .offset:         0
        .size:           8
        .value_kind:     by_value
      - .offset:         8
        .size:           8
        .value_kind:     by_value
      - .offset:         16
        .size:           16
        .value_kind:     by_value
      - .actual_access:  read_only
        .address_space:  global
        .offset:         32
        .size:           8
        .value_kind:     global_buffer
      - .actual_access:  read_only
        .address_space:  global
        .offset:         40
        .size:           8
        .value_kind:     global_buffer
      - .actual_access:  read_only
        .address_space:  global
        .offset:         48
        .size:           8
        .value_kind:     global_buffer
      - .address_space:  global
        .offset:         56
        .size:           8
        .value_kind:     global_buffer
      - .actual_access:  write_only
        .address_space:  global
        .offset:         64
        .size:           8
        .value_kind:     global_buffer
      - .actual_access:  write_only
        .address_space:  global
        .offset:         72
        .size:           8
        .value_kind:     global_buffer
      - .offset:         80
        .size:           4
        .value_kind:     by_value
      - .offset:         84
        .size:           1
        .value_kind:     by_value
    .group_segment_fixed_size: 8192
    .kernarg_segment_align: 8
    .kernarg_segment_size: 88
    .language:       OpenCL C
    .language_version:
      - 2
      - 0
    .max_flat_workgroup_size: 256
    .name:           _ZN9rocsparseL26coomvn_aos_segmented_loopsILj256El21rocsparse_complex_numIdES2_S2_S2_EEvlT0_NS_24const_host_device_scalarIT4_EEPKS3_PKT1_PKT2_PT3_PS3_PS5_21rocsparse_index_base_b
    .private_segment_fixed_size: 0
    .sgpr_count:     40
    .sgpr_spill_count: 0
    .symbol:         _ZN9rocsparseL26coomvn_aos_segmented_loopsILj256El21rocsparse_complex_numIdES2_S2_S2_EEvlT0_NS_24const_host_device_scalarIT4_EEPKS3_PKT1_PKT2_PT3_PS3_PS5_21rocsparse_index_base_b.kd
    .uniform_work_group_size: 1
    .uses_dynamic_stack: false
    .vgpr_count:     42
    .vgpr_spill_count: 0
    .wavefront_size: 32
    .workgroup_processor_mode: 1
  - .args:
      - .offset:         0
        .size:           8
        .value_kind:     by_value
      - .offset:         8
        .size:           16
        .value_kind:     by_value
      - .actual_access:  read_only
        .address_space:  global
        .offset:         24
        .size:           8
        .value_kind:     global_buffer
      - .actual_access:  read_only
        .address_space:  global
        .offset:         32
        .size:           8
        .value_kind:     global_buffer
      - .address_space:  global
        .offset:         40
        .size:           8
        .value_kind:     global_buffer
      - .offset:         48
        .size:           1
        .value_kind:     by_value
    .group_segment_fixed_size: 8192
    .kernarg_segment_align: 8
    .kernarg_segment_size: 52
    .language:       OpenCL C
    .language_version:
      - 2
      - 0
    .max_flat_workgroup_size: 256
    .name:           _ZN9rocsparseL29coomvn_segmented_loops_reduceILj256El21rocsparse_complex_numIdES2_EEvT0_NS_24const_host_device_scalarIT2_EEPKS3_PKS5_PT1_b
    .private_segment_fixed_size: 0
    .sgpr_count:     22
    .sgpr_spill_count: 0
    .symbol:         _ZN9rocsparseL29coomvn_segmented_loops_reduceILj256El21rocsparse_complex_numIdES2_EEvT0_NS_24const_host_device_scalarIT2_EEPKS3_PKS5_PT1_b.kd
    .uniform_work_group_size: 1
    .uses_dynamic_stack: false
    .vgpr_count:     37
    .vgpr_spill_count: 0
    .wavefront_size: 32
    .workgroup_processor_mode: 1
  - .args:
      - .offset:         0
        .size:           8
        .value_kind:     by_value
      - .offset:         8
        .size:           8
        .value_kind:     by_value
      - .actual_access:  read_only
        .address_space:  global
        .offset:         16
        .size:           8
        .value_kind:     global_buffer
      - .actual_access:  read_only
        .address_space:  global
        .offset:         24
        .size:           8
        .value_kind:     global_buffer
      - .actual_access:  read_only
        .address_space:  global
        .offset:         32
        .size:           8
        .value_kind:     global_buffer
      - .address_space:  global
        .offset:         40
        .size:           8
        .value_kind:     global_buffer
      - .offset:         48
        .size:           4
        .value_kind:     by_value
      - .offset:         52
        .size:           1
        .value_kind:     by_value
    .group_segment_fixed_size: 2048
    .kernarg_segment_align: 8
    .kernarg_segment_size: 56
    .language:       OpenCL C
    .language_version:
      - 2
      - 0
    .max_flat_workgroup_size: 256
    .name:           _ZN9rocsparseL23coomvn_aos_atomic_loopsILj256ELj1EiaaiiEEvlNS_24const_host_device_scalarIT5_EEPKT1_PKT2_PKT3_PT4_21rocsparse_index_base_b
    .private_segment_fixed_size: 0
    .sgpr_count:     18
    .sgpr_spill_count: 0
    .symbol:         _ZN9rocsparseL23coomvn_aos_atomic_loopsILj256ELj1EiaaiiEEvlNS_24const_host_device_scalarIT5_EEPKT1_PKT2_PKT3_PT4_21rocsparse_index_base_b.kd
    .uniform_work_group_size: 1
    .uses_dynamic_stack: false
    .vgpr_count:     7
    .vgpr_spill_count: 0
    .wavefront_size: 32
    .workgroup_processor_mode: 1
  - .args:
      - .offset:         0
        .size:           4
        .value_kind:     by_value
      - .offset:         8
        .size:           8
        .value_kind:     by_value
      - .offset:         16
        .size:           8
        .value_kind:     by_value
      - .actual_access:  read_only
        .address_space:  global
        .offset:         24
        .size:           8
        .value_kind:     global_buffer
      - .actual_access:  read_only
        .address_space:  global
        .offset:         32
        .size:           8
        .value_kind:     global_buffer
      - .actual_access:  read_only
        .address_space:  global
        .offset:         40
        .size:           8
        .value_kind:     global_buffer
      - .address_space:  global
        .offset:         48
        .size:           8
        .value_kind:     global_buffer
      - .offset:         56
        .size:           4
        .value_kind:     by_value
      - .offset:         60
        .size:           1
        .value_kind:     by_value
      - .offset:         64
        .size:           4
        .value_kind:     hidden_block_count_x
      - .offset:         68
        .size:           4
        .value_kind:     hidden_block_count_y
      - .offset:         72
        .size:           4
        .value_kind:     hidden_block_count_z
      - .offset:         76
        .size:           2
        .value_kind:     hidden_group_size_x
      - .offset:         78
        .size:           2
        .value_kind:     hidden_group_size_y
      - .offset:         80
        .size:           2
        .value_kind:     hidden_group_size_z
      - .offset:         82
        .size:           2
        .value_kind:     hidden_remainder_x
      - .offset:         84
        .size:           2
        .value_kind:     hidden_remainder_y
      - .offset:         86
        .size:           2
        .value_kind:     hidden_remainder_z
      - .offset:         104
        .size:           8
        .value_kind:     hidden_global_offset_x
      - .offset:         112
        .size:           8
        .value_kind:     hidden_global_offset_y
      - .offset:         120
        .size:           8
        .value_kind:     hidden_global_offset_z
      - .offset:         128
        .size:           2
        .value_kind:     hidden_grid_dims
    .group_segment_fixed_size: 0
    .kernarg_segment_align: 8
    .kernarg_segment_size: 320
    .language:       OpenCL C
    .language_version:
      - 2
      - 0
    .max_flat_workgroup_size: 1024
    .name:           _ZN9rocsparseL17coomvt_aos_kernelILj1024EiaaiiEEv20rocsparse_operation_lNS_24const_host_device_scalarIT4_EEPKT0_PKT1_PKT2_PT3_21rocsparse_index_base_b
    .private_segment_fixed_size: 0
    .sgpr_count:     18
    .sgpr_spill_count: 0
    .symbol:         _ZN9rocsparseL17coomvt_aos_kernelILj1024EiaaiiEEv20rocsparse_operation_lNS_24const_host_device_scalarIT4_EEPKT0_PKT1_PKT2_PT3_21rocsparse_index_base_b.kd
    .uniform_work_group_size: 1
    .uses_dynamic_stack: false
    .vgpr_count:     6
    .vgpr_spill_count: 0
    .wavefront_size: 32
    .workgroup_processor_mode: 1
  - .args:
      - .offset:         0
        .size:           8
        .value_kind:     by_value
      - .offset:         8
        .size:           4
        .value_kind:     by_value
      - .offset:         16
        .size:           8
        .value_kind:     by_value
      - .actual_access:  read_only
        .address_space:  global
        .offset:         24
        .size:           8
        .value_kind:     global_buffer
      - .actual_access:  read_only
        .address_space:  global
        .offset:         32
        .size:           8
        .value_kind:     global_buffer
      - .actual_access:  read_only
        .address_space:  global
        .offset:         40
        .size:           8
        .value_kind:     global_buffer
      - .address_space:  global
        .offset:         48
        .size:           8
        .value_kind:     global_buffer
      - .actual_access:  write_only
        .address_space:  global
        .offset:         56
        .size:           8
        .value_kind:     global_buffer
      - .actual_access:  write_only
        .address_space:  global
        .offset:         64
        .size:           8
        .value_kind:     global_buffer
      - .offset:         72
        .size:           4
        .value_kind:     by_value
      - .offset:         76
        .size:           1
        .value_kind:     by_value
    .group_segment_fixed_size: 2048
    .kernarg_segment_align: 8
    .kernarg_segment_size: 80
    .language:       OpenCL C
    .language_version:
      - 2
      - 0
    .max_flat_workgroup_size: 256
    .name:           _ZN9rocsparseL26coomvn_aos_segmented_loopsILj256EiaaiiEEvlT0_NS_24const_host_device_scalarIT4_EEPKS1_PKT1_PKT2_PT3_PS1_PS3_21rocsparse_index_base_b
    .private_segment_fixed_size: 0
    .sgpr_count:     34
    .sgpr_spill_count: 0
    .symbol:         _ZN9rocsparseL26coomvn_aos_segmented_loopsILj256EiaaiiEEvlT0_NS_24const_host_device_scalarIT4_EEPKS1_PKT1_PKT2_PT3_PS1_PS3_21rocsparse_index_base_b.kd
    .uniform_work_group_size: 1
    .uses_dynamic_stack: false
    .vgpr_count:     31
    .vgpr_spill_count: 0
    .wavefront_size: 32
    .workgroup_processor_mode: 1
  - .args:
      - .offset:         0
        .size:           4
        .value_kind:     by_value
      - .offset:         8
        .size:           8
        .value_kind:     by_value
      - .actual_access:  read_only
        .address_space:  global
        .offset:         16
        .size:           8
        .value_kind:     global_buffer
      - .actual_access:  read_only
        .address_space:  global
        .offset:         24
        .size:           8
        .value_kind:     global_buffer
      - .address_space:  global
        .offset:         32
        .size:           8
        .value_kind:     global_buffer
      - .offset:         40
        .size:           1
        .value_kind:     by_value
    .group_segment_fixed_size: 2048
    .kernarg_segment_align: 8
    .kernarg_segment_size: 44
    .language:       OpenCL C
    .language_version:
      - 2
      - 0
    .max_flat_workgroup_size: 256
    .name:           _ZN9rocsparseL29coomvn_segmented_loops_reduceILj256EiiiEEvT0_NS_24const_host_device_scalarIT2_EEPKS1_PKS3_PT1_b
    .private_segment_fixed_size: 0
    .sgpr_count:     21
    .sgpr_spill_count: 0
    .symbol:         _ZN9rocsparseL29coomvn_segmented_loops_reduceILj256EiiiEEvT0_NS_24const_host_device_scalarIT2_EEPKS1_PKS3_PT1_b.kd
    .uniform_work_group_size: 1
    .uses_dynamic_stack: false
    .vgpr_count:     27
    .vgpr_spill_count: 0
    .wavefront_size: 32
    .workgroup_processor_mode: 1
  - .args:
      - .offset:         0
        .size:           8
        .value_kind:     by_value
      - .offset:         8
        .size:           8
        .value_kind:     by_value
      - .actual_access:  read_only
        .address_space:  global
        .offset:         16
        .size:           8
        .value_kind:     global_buffer
      - .actual_access:  read_only
        .address_space:  global
        .offset:         24
        .size:           8
        .value_kind:     global_buffer
      - .actual_access:  read_only
        .address_space:  global
        .offset:         32
        .size:           8
        .value_kind:     global_buffer
      - .address_space:  global
        .offset:         40
        .size:           8
        .value_kind:     global_buffer
      - .offset:         48
        .size:           4
        .value_kind:     by_value
      - .offset:         52
        .size:           1
        .value_kind:     by_value
    .group_segment_fixed_size: 3072
    .kernarg_segment_align: 8
    .kernarg_segment_size: 56
    .language:       OpenCL C
    .language_version:
      - 2
      - 0
    .max_flat_workgroup_size: 256
    .name:           _ZN9rocsparseL23coomvn_aos_atomic_loopsILj256ELj1ElaaiiEEvlNS_24const_host_device_scalarIT5_EEPKT1_PKT2_PKT3_PT4_21rocsparse_index_base_b
    .private_segment_fixed_size: 0
    .sgpr_count:     18
    .sgpr_spill_count: 0
    .symbol:         _ZN9rocsparseL23coomvn_aos_atomic_loopsILj256ELj1ElaaiiEEvlNS_24const_host_device_scalarIT5_EEPKT1_PKT2_PKT3_PT4_21rocsparse_index_base_b.kd
    .uniform_work_group_size: 1
    .uses_dynamic_stack: false
    .vgpr_count:     8
    .vgpr_spill_count: 0
    .wavefront_size: 32
    .workgroup_processor_mode: 1
  - .args:
      - .offset:         0
        .size:           4
        .value_kind:     by_value
      - .offset:         8
        .size:           8
        .value_kind:     by_value
      - .offset:         16
        .size:           8
        .value_kind:     by_value
      - .actual_access:  read_only
        .address_space:  global
        .offset:         24
        .size:           8
        .value_kind:     global_buffer
      - .actual_access:  read_only
        .address_space:  global
        .offset:         32
        .size:           8
        .value_kind:     global_buffer
      - .actual_access:  read_only
        .address_space:  global
        .offset:         40
        .size:           8
        .value_kind:     global_buffer
      - .address_space:  global
        .offset:         48
        .size:           8
        .value_kind:     global_buffer
      - .offset:         56
        .size:           4
        .value_kind:     by_value
      - .offset:         60
        .size:           1
        .value_kind:     by_value
      - .offset:         64
        .size:           4
        .value_kind:     hidden_block_count_x
      - .offset:         68
        .size:           4
        .value_kind:     hidden_block_count_y
      - .offset:         72
        .size:           4
        .value_kind:     hidden_block_count_z
      - .offset:         76
        .size:           2
        .value_kind:     hidden_group_size_x
      - .offset:         78
        .size:           2
        .value_kind:     hidden_group_size_y
      - .offset:         80
        .size:           2
        .value_kind:     hidden_group_size_z
      - .offset:         82
        .size:           2
        .value_kind:     hidden_remainder_x
      - .offset:         84
        .size:           2
        .value_kind:     hidden_remainder_y
      - .offset:         86
        .size:           2
        .value_kind:     hidden_remainder_z
      - .offset:         104
        .size:           8
        .value_kind:     hidden_global_offset_x
      - .offset:         112
        .size:           8
        .value_kind:     hidden_global_offset_y
      - .offset:         120
        .size:           8
        .value_kind:     hidden_global_offset_z
      - .offset:         128
        .size:           2
        .value_kind:     hidden_grid_dims
    .group_segment_fixed_size: 0
    .kernarg_segment_align: 8
    .kernarg_segment_size: 320
    .language:       OpenCL C
    .language_version:
      - 2
      - 0
    .max_flat_workgroup_size: 1024
    .name:           _ZN9rocsparseL17coomvt_aos_kernelILj1024ElaaiiEEv20rocsparse_operation_lNS_24const_host_device_scalarIT4_EEPKT0_PKT1_PKT2_PT3_21rocsparse_index_base_b
    .private_segment_fixed_size: 0
    .sgpr_count:     18
    .sgpr_spill_count: 0
    .symbol:         _ZN9rocsparseL17coomvt_aos_kernelILj1024ElaaiiEEv20rocsparse_operation_lNS_24const_host_device_scalarIT4_EEPKT0_PKT1_PKT2_PT3_21rocsparse_index_base_b.kd
    .uniform_work_group_size: 1
    .uses_dynamic_stack: false
    .vgpr_count:     7
    .vgpr_spill_count: 0
    .wavefront_size: 32
    .workgroup_processor_mode: 1
  - .args:
      - .offset:         0
        .size:           8
        .value_kind:     by_value
      - .offset:         8
        .size:           8
        .value_kind:     by_value
      - .offset:         16
        .size:           8
        .value_kind:     by_value
      - .actual_access:  read_only
        .address_space:  global
        .offset:         24
        .size:           8
        .value_kind:     global_buffer
      - .actual_access:  read_only
        .address_space:  global
        .offset:         32
        .size:           8
        .value_kind:     global_buffer
      - .actual_access:  read_only
        .address_space:  global
        .offset:         40
        .size:           8
        .value_kind:     global_buffer
      - .address_space:  global
        .offset:         48
        .size:           8
        .value_kind:     global_buffer
      - .actual_access:  write_only
        .address_space:  global
        .offset:         56
        .size:           8
        .value_kind:     global_buffer
      - .actual_access:  write_only
        .address_space:  global
        .offset:         64
        .size:           8
        .value_kind:     global_buffer
      - .offset:         72
        .size:           4
        .value_kind:     by_value
      - .offset:         76
        .size:           1
        .value_kind:     by_value
    .group_segment_fixed_size: 3072
    .kernarg_segment_align: 8
    .kernarg_segment_size: 80
    .language:       OpenCL C
    .language_version:
      - 2
      - 0
    .max_flat_workgroup_size: 256
    .name:           _ZN9rocsparseL26coomvn_aos_segmented_loopsILj256ElaaiiEEvlT0_NS_24const_host_device_scalarIT4_EEPKS1_PKT1_PKT2_PT3_PS1_PS3_21rocsparse_index_base_b
    .private_segment_fixed_size: 0
    .sgpr_count:     38
    .sgpr_spill_count: 0
    .symbol:         _ZN9rocsparseL26coomvn_aos_segmented_loopsILj256ElaaiiEEvlT0_NS_24const_host_device_scalarIT4_EEPKS1_PKT1_PKT2_PT3_PS1_PS3_21rocsparse_index_base_b.kd
    .uniform_work_group_size: 1
    .uses_dynamic_stack: false
    .vgpr_count:     33
    .vgpr_spill_count: 0
    .wavefront_size: 32
    .workgroup_processor_mode: 1
  - .args:
      - .offset:         0
        .size:           8
        .value_kind:     by_value
      - .offset:         8
        .size:           8
        .value_kind:     by_value
      - .actual_access:  read_only
        .address_space:  global
        .offset:         16
        .size:           8
        .value_kind:     global_buffer
      - .actual_access:  read_only
        .address_space:  global
        .offset:         24
        .size:           8
        .value_kind:     global_buffer
      - .address_space:  global
        .offset:         32
        .size:           8
        .value_kind:     global_buffer
      - .offset:         40
        .size:           1
        .value_kind:     by_value
    .group_segment_fixed_size: 3072
    .kernarg_segment_align: 8
    .kernarg_segment_size: 44
    .language:       OpenCL C
    .language_version:
      - 2
      - 0
    .max_flat_workgroup_size: 256
    .name:           _ZN9rocsparseL29coomvn_segmented_loops_reduceILj256EliiEEvT0_NS_24const_host_device_scalarIT2_EEPKS1_PKS3_PT1_b
    .private_segment_fixed_size: 0
    .sgpr_count:     22
    .sgpr_spill_count: 0
    .symbol:         _ZN9rocsparseL29coomvn_segmented_loops_reduceILj256EliiEEvT0_NS_24const_host_device_scalarIT2_EEPKS1_PKS3_PT1_b.kd
    .uniform_work_group_size: 1
    .uses_dynamic_stack: false
    .vgpr_count:     29
    .vgpr_spill_count: 0
    .wavefront_size: 32
    .workgroup_processor_mode: 1
  - .args:
      - .offset:         0
        .size:           8
        .value_kind:     by_value
      - .offset:         8
        .size:           8
        .value_kind:     by_value
      - .actual_access:  read_only
        .address_space:  global
        .offset:         16
        .size:           8
        .value_kind:     global_buffer
      - .actual_access:  read_only
        .address_space:  global
        .offset:         24
        .size:           8
        .value_kind:     global_buffer
      - .actual_access:  read_only
        .address_space:  global
        .offset:         32
        .size:           8
        .value_kind:     global_buffer
      - .address_space:  global
        .offset:         40
        .size:           8
        .value_kind:     global_buffer
      - .offset:         48
        .size:           4
        .value_kind:     by_value
      - .offset:         52
        .size:           1
        .value_kind:     by_value
    .group_segment_fixed_size: 2048
    .kernarg_segment_align: 8
    .kernarg_segment_size: 56
    .language:       OpenCL C
    .language_version:
      - 2
      - 0
    .max_flat_workgroup_size: 256
    .name:           _ZN9rocsparseL23coomvn_aos_atomic_loopsILj256ELj1EiaaffEEvlNS_24const_host_device_scalarIT5_EEPKT1_PKT2_PKT3_PT4_21rocsparse_index_base_b
    .private_segment_fixed_size: 0
    .sgpr_count:     18
    .sgpr_spill_count: 0
    .symbol:         _ZN9rocsparseL23coomvn_aos_atomic_loopsILj256ELj1EiaaffEEvlNS_24const_host_device_scalarIT5_EEPKT1_PKT2_PKT3_PT4_21rocsparse_index_base_b.kd
    .uniform_work_group_size: 1
    .uses_dynamic_stack: false
    .vgpr_count:     8
    .vgpr_spill_count: 0
    .wavefront_size: 32
    .workgroup_processor_mode: 1
  - .args:
      - .offset:         0
        .size:           4
        .value_kind:     by_value
      - .offset:         8
        .size:           8
        .value_kind:     by_value
      - .offset:         16
        .size:           8
        .value_kind:     by_value
      - .actual_access:  read_only
        .address_space:  global
        .offset:         24
        .size:           8
        .value_kind:     global_buffer
      - .actual_access:  read_only
        .address_space:  global
        .offset:         32
        .size:           8
        .value_kind:     global_buffer
      - .actual_access:  read_only
        .address_space:  global
        .offset:         40
        .size:           8
        .value_kind:     global_buffer
      - .address_space:  global
        .offset:         48
        .size:           8
        .value_kind:     global_buffer
      - .offset:         56
        .size:           4
        .value_kind:     by_value
      - .offset:         60
        .size:           1
        .value_kind:     by_value
      - .offset:         64
        .size:           4
        .value_kind:     hidden_block_count_x
      - .offset:         68
        .size:           4
        .value_kind:     hidden_block_count_y
      - .offset:         72
        .size:           4
        .value_kind:     hidden_block_count_z
      - .offset:         76
        .size:           2
        .value_kind:     hidden_group_size_x
      - .offset:         78
        .size:           2
        .value_kind:     hidden_group_size_y
      - .offset:         80
        .size:           2
        .value_kind:     hidden_group_size_z
      - .offset:         82
        .size:           2
        .value_kind:     hidden_remainder_x
      - .offset:         84
        .size:           2
        .value_kind:     hidden_remainder_y
      - .offset:         86
        .size:           2
        .value_kind:     hidden_remainder_z
      - .offset:         104
        .size:           8
        .value_kind:     hidden_global_offset_x
      - .offset:         112
        .size:           8
        .value_kind:     hidden_global_offset_y
      - .offset:         120
        .size:           8
        .value_kind:     hidden_global_offset_z
      - .offset:         128
        .size:           2
        .value_kind:     hidden_grid_dims
    .group_segment_fixed_size: 0
    .kernarg_segment_align: 8
    .kernarg_segment_size: 320
    .language:       OpenCL C
    .language_version:
      - 2
      - 0
    .max_flat_workgroup_size: 1024
    .name:           _ZN9rocsparseL17coomvt_aos_kernelILj1024EiaaffEEv20rocsparse_operation_lNS_24const_host_device_scalarIT4_EEPKT0_PKT1_PKT2_PT3_21rocsparse_index_base_b
    .private_segment_fixed_size: 0
    .sgpr_count:     18
    .sgpr_spill_count: 0
    .symbol:         _ZN9rocsparseL17coomvt_aos_kernelILj1024EiaaffEEv20rocsparse_operation_lNS_24const_host_device_scalarIT4_EEPKT0_PKT1_PKT2_PT3_21rocsparse_index_base_b.kd
    .uniform_work_group_size: 1
    .uses_dynamic_stack: false
    .vgpr_count:     6
    .vgpr_spill_count: 0
    .wavefront_size: 32
    .workgroup_processor_mode: 1
  - .args:
      - .offset:         0
        .size:           8
        .value_kind:     by_value
      - .offset:         8
        .size:           4
        .value_kind:     by_value
      - .offset:         16
        .size:           8
        .value_kind:     by_value
      - .actual_access:  read_only
        .address_space:  global
        .offset:         24
        .size:           8
        .value_kind:     global_buffer
      - .actual_access:  read_only
        .address_space:  global
        .offset:         32
        .size:           8
        .value_kind:     global_buffer
      - .actual_access:  read_only
        .address_space:  global
        .offset:         40
        .size:           8
        .value_kind:     global_buffer
      - .address_space:  global
        .offset:         48
        .size:           8
        .value_kind:     global_buffer
      - .actual_access:  write_only
        .address_space:  global
        .offset:         56
        .size:           8
        .value_kind:     global_buffer
      - .actual_access:  write_only
        .address_space:  global
        .offset:         64
        .size:           8
        .value_kind:     global_buffer
      - .offset:         72
        .size:           4
        .value_kind:     by_value
      - .offset:         76
        .size:           1
        .value_kind:     by_value
    .group_segment_fixed_size: 2048
    .kernarg_segment_align: 8
    .kernarg_segment_size: 80
    .language:       OpenCL C
    .language_version:
      - 2
      - 0
    .max_flat_workgroup_size: 256
    .name:           _ZN9rocsparseL26coomvn_aos_segmented_loopsILj256EiaaffEEvlT0_NS_24const_host_device_scalarIT4_EEPKS1_PKT1_PKT2_PT3_PS1_PS3_21rocsparse_index_base_b
    .private_segment_fixed_size: 0
    .sgpr_count:     34
    .sgpr_spill_count: 0
    .symbol:         _ZN9rocsparseL26coomvn_aos_segmented_loopsILj256EiaaffEEvlT0_NS_24const_host_device_scalarIT4_EEPKS1_PKT1_PKT2_PT3_PS1_PS3_21rocsparse_index_base_b.kd
    .uniform_work_group_size: 1
    .uses_dynamic_stack: false
    .vgpr_count:     29
    .vgpr_spill_count: 0
    .wavefront_size: 32
    .workgroup_processor_mode: 1
  - .args:
      - .offset:         0
        .size:           8
        .value_kind:     by_value
      - .offset:         8
        .size:           8
        .value_kind:     by_value
      - .actual_access:  read_only
        .address_space:  global
        .offset:         16
        .size:           8
        .value_kind:     global_buffer
      - .actual_access:  read_only
        .address_space:  global
        .offset:         24
        .size:           8
        .value_kind:     global_buffer
      - .actual_access:  read_only
        .address_space:  global
        .offset:         32
        .size:           8
        .value_kind:     global_buffer
      - .address_space:  global
        .offset:         40
        .size:           8
        .value_kind:     global_buffer
      - .offset:         48
        .size:           4
        .value_kind:     by_value
      - .offset:         52
        .size:           1
        .value_kind:     by_value
    .group_segment_fixed_size: 3072
    .kernarg_segment_align: 8
    .kernarg_segment_size: 56
    .language:       OpenCL C
    .language_version:
      - 2
      - 0
    .max_flat_workgroup_size: 256
    .name:           _ZN9rocsparseL23coomvn_aos_atomic_loopsILj256ELj1ElaaffEEvlNS_24const_host_device_scalarIT5_EEPKT1_PKT2_PKT3_PT4_21rocsparse_index_base_b
    .private_segment_fixed_size: 0
    .sgpr_count:     18
    .sgpr_spill_count: 0
    .symbol:         _ZN9rocsparseL23coomvn_aos_atomic_loopsILj256ELj1ElaaffEEvlNS_24const_host_device_scalarIT5_EEPKT1_PKT2_PKT3_PT4_21rocsparse_index_base_b.kd
    .uniform_work_group_size: 1
    .uses_dynamic_stack: false
    .vgpr_count:     9
    .vgpr_spill_count: 0
    .wavefront_size: 32
    .workgroup_processor_mode: 1
  - .args:
      - .offset:         0
        .size:           4
        .value_kind:     by_value
      - .offset:         8
        .size:           8
        .value_kind:     by_value
      - .offset:         16
        .size:           8
        .value_kind:     by_value
      - .actual_access:  read_only
        .address_space:  global
        .offset:         24
        .size:           8
        .value_kind:     global_buffer
      - .actual_access:  read_only
        .address_space:  global
        .offset:         32
        .size:           8
        .value_kind:     global_buffer
      - .actual_access:  read_only
        .address_space:  global
        .offset:         40
        .size:           8
        .value_kind:     global_buffer
      - .address_space:  global
        .offset:         48
        .size:           8
        .value_kind:     global_buffer
      - .offset:         56
        .size:           4
        .value_kind:     by_value
      - .offset:         60
        .size:           1
        .value_kind:     by_value
      - .offset:         64
        .size:           4
        .value_kind:     hidden_block_count_x
      - .offset:         68
        .size:           4
        .value_kind:     hidden_block_count_y
      - .offset:         72
        .size:           4
        .value_kind:     hidden_block_count_z
      - .offset:         76
        .size:           2
        .value_kind:     hidden_group_size_x
      - .offset:         78
        .size:           2
        .value_kind:     hidden_group_size_y
      - .offset:         80
        .size:           2
        .value_kind:     hidden_group_size_z
      - .offset:         82
        .size:           2
        .value_kind:     hidden_remainder_x
      - .offset:         84
        .size:           2
        .value_kind:     hidden_remainder_y
      - .offset:         86
        .size:           2
        .value_kind:     hidden_remainder_z
      - .offset:         104
        .size:           8
        .value_kind:     hidden_global_offset_x
      - .offset:         112
        .size:           8
        .value_kind:     hidden_global_offset_y
      - .offset:         120
        .size:           8
        .value_kind:     hidden_global_offset_z
      - .offset:         128
        .size:           2
        .value_kind:     hidden_grid_dims
    .group_segment_fixed_size: 0
    .kernarg_segment_align: 8
    .kernarg_segment_size: 320
    .language:       OpenCL C
    .language_version:
      - 2
      - 0
    .max_flat_workgroup_size: 1024
    .name:           _ZN9rocsparseL17coomvt_aos_kernelILj1024ElaaffEEv20rocsparse_operation_lNS_24const_host_device_scalarIT4_EEPKT0_PKT1_PKT2_PT3_21rocsparse_index_base_b
    .private_segment_fixed_size: 0
    .sgpr_count:     18
    .sgpr_spill_count: 0
    .symbol:         _ZN9rocsparseL17coomvt_aos_kernelILj1024ElaaffEEv20rocsparse_operation_lNS_24const_host_device_scalarIT4_EEPKT0_PKT1_PKT2_PT3_21rocsparse_index_base_b.kd
    .uniform_work_group_size: 1
    .uses_dynamic_stack: false
    .vgpr_count:     7
    .vgpr_spill_count: 0
    .wavefront_size: 32
    .workgroup_processor_mode: 1
  - .args:
      - .offset:         0
        .size:           8
        .value_kind:     by_value
      - .offset:         8
        .size:           8
        .value_kind:     by_value
      - .offset:         16
        .size:           8
        .value_kind:     by_value
      - .actual_access:  read_only
        .address_space:  global
        .offset:         24
        .size:           8
        .value_kind:     global_buffer
      - .actual_access:  read_only
        .address_space:  global
        .offset:         32
        .size:           8
        .value_kind:     global_buffer
      - .actual_access:  read_only
        .address_space:  global
        .offset:         40
        .size:           8
        .value_kind:     global_buffer
      - .address_space:  global
        .offset:         48
        .size:           8
        .value_kind:     global_buffer
      - .actual_access:  write_only
        .address_space:  global
        .offset:         56
        .size:           8
        .value_kind:     global_buffer
      - .actual_access:  write_only
        .address_space:  global
        .offset:         64
        .size:           8
        .value_kind:     global_buffer
      - .offset:         72
        .size:           4
        .value_kind:     by_value
      - .offset:         76
        .size:           1
        .value_kind:     by_value
    .group_segment_fixed_size: 3072
    .kernarg_segment_align: 8
    .kernarg_segment_size: 80
    .language:       OpenCL C
    .language_version:
      - 2
      - 0
    .max_flat_workgroup_size: 256
    .name:           _ZN9rocsparseL26coomvn_aos_segmented_loopsILj256ElaaffEEvlT0_NS_24const_host_device_scalarIT4_EEPKS1_PKT1_PKT2_PT3_PS1_PS3_21rocsparse_index_base_b
    .private_segment_fixed_size: 0
    .sgpr_count:     40
    .sgpr_spill_count: 0
    .symbol:         _ZN9rocsparseL26coomvn_aos_segmented_loopsILj256ElaaffEEvlT0_NS_24const_host_device_scalarIT4_EEPKS1_PKT1_PKT2_PT3_PS1_PS3_21rocsparse_index_base_b.kd
    .uniform_work_group_size: 1
    .uses_dynamic_stack: false
    .vgpr_count:     33
    .vgpr_spill_count: 0
    .wavefront_size: 32
    .workgroup_processor_mode: 1
  - .args:
      - .offset:         0
        .size:           8
        .value_kind:     by_value
      - .offset:         8
        .size:           8
        .value_kind:     by_value
      - .actual_access:  read_only
        .address_space:  global
        .offset:         16
        .size:           8
        .value_kind:     global_buffer
      - .actual_access:  read_only
        .address_space:  global
        .offset:         24
        .size:           8
        .value_kind:     global_buffer
      - .actual_access:  read_only
        .address_space:  global
        .offset:         32
        .size:           8
        .value_kind:     global_buffer
      - .address_space:  global
        .offset:         40
        .size:           8
        .value_kind:     global_buffer
      - .offset:         48
        .size:           4
        .value_kind:     by_value
      - .offset:         52
        .size:           1
        .value_kind:     by_value
    .group_segment_fixed_size: 2048
    .kernarg_segment_align: 8
    .kernarg_segment_size: 56
    .language:       OpenCL C
    .language_version:
      - 2
      - 0
    .max_flat_workgroup_size: 256
    .name:           _ZN9rocsparseL23coomvn_aos_atomic_loopsILj256ELj1EiDF16_DF16_ffEEvlNS_24const_host_device_scalarIT5_EEPKT1_PKT2_PKT3_PT4_21rocsparse_index_base_b
    .private_segment_fixed_size: 0
    .sgpr_count:     18
    .sgpr_spill_count: 0
    .symbol:         _ZN9rocsparseL23coomvn_aos_atomic_loopsILj256ELj1EiDF16_DF16_ffEEvlNS_24const_host_device_scalarIT5_EEPKT1_PKT2_PKT3_PT4_21rocsparse_index_base_b.kd
    .uniform_work_group_size: 1
    .uses_dynamic_stack: false
    .vgpr_count:     8
    .vgpr_spill_count: 0
    .wavefront_size: 32
    .workgroup_processor_mode: 1
  - .args:
      - .offset:         0
        .size:           4
        .value_kind:     by_value
      - .offset:         8
        .size:           8
        .value_kind:     by_value
      - .offset:         16
        .size:           8
        .value_kind:     by_value
      - .actual_access:  read_only
        .address_space:  global
        .offset:         24
        .size:           8
        .value_kind:     global_buffer
      - .actual_access:  read_only
        .address_space:  global
        .offset:         32
        .size:           8
        .value_kind:     global_buffer
      - .actual_access:  read_only
        .address_space:  global
        .offset:         40
        .size:           8
        .value_kind:     global_buffer
      - .address_space:  global
        .offset:         48
        .size:           8
        .value_kind:     global_buffer
      - .offset:         56
        .size:           4
        .value_kind:     by_value
      - .offset:         60
        .size:           1
        .value_kind:     by_value
      - .offset:         64
        .size:           4
        .value_kind:     hidden_block_count_x
      - .offset:         68
        .size:           4
        .value_kind:     hidden_block_count_y
      - .offset:         72
        .size:           4
        .value_kind:     hidden_block_count_z
      - .offset:         76
        .size:           2
        .value_kind:     hidden_group_size_x
      - .offset:         78
        .size:           2
        .value_kind:     hidden_group_size_y
      - .offset:         80
        .size:           2
        .value_kind:     hidden_group_size_z
      - .offset:         82
        .size:           2
        .value_kind:     hidden_remainder_x
      - .offset:         84
        .size:           2
        .value_kind:     hidden_remainder_y
      - .offset:         86
        .size:           2
        .value_kind:     hidden_remainder_z
      - .offset:         104
        .size:           8
        .value_kind:     hidden_global_offset_x
      - .offset:         112
        .size:           8
        .value_kind:     hidden_global_offset_y
      - .offset:         120
        .size:           8
        .value_kind:     hidden_global_offset_z
      - .offset:         128
        .size:           2
        .value_kind:     hidden_grid_dims
    .group_segment_fixed_size: 0
    .kernarg_segment_align: 8
    .kernarg_segment_size: 320
    .language:       OpenCL C
    .language_version:
      - 2
      - 0
    .max_flat_workgroup_size: 1024
    .name:           _ZN9rocsparseL17coomvt_aos_kernelILj1024EiDF16_DF16_ffEEv20rocsparse_operation_lNS_24const_host_device_scalarIT4_EEPKT0_PKT1_PKT2_PT3_21rocsparse_index_base_b
    .private_segment_fixed_size: 0
    .sgpr_count:     18
    .sgpr_spill_count: 0
    .symbol:         _ZN9rocsparseL17coomvt_aos_kernelILj1024EiDF16_DF16_ffEEv20rocsparse_operation_lNS_24const_host_device_scalarIT4_EEPKT0_PKT1_PKT2_PT3_21rocsparse_index_base_b.kd
    .uniform_work_group_size: 1
    .uses_dynamic_stack: false
    .vgpr_count:     7
    .vgpr_spill_count: 0
    .wavefront_size: 32
    .workgroup_processor_mode: 1
  - .args:
      - .offset:         0
        .size:           8
        .value_kind:     by_value
      - .offset:         8
        .size:           4
        .value_kind:     by_value
      - .offset:         16
        .size:           8
        .value_kind:     by_value
      - .actual_access:  read_only
        .address_space:  global
        .offset:         24
        .size:           8
        .value_kind:     global_buffer
      - .actual_access:  read_only
        .address_space:  global
        .offset:         32
        .size:           8
        .value_kind:     global_buffer
      - .actual_access:  read_only
        .address_space:  global
        .offset:         40
        .size:           8
        .value_kind:     global_buffer
      - .address_space:  global
        .offset:         48
        .size:           8
        .value_kind:     global_buffer
      - .actual_access:  write_only
        .address_space:  global
        .offset:         56
        .size:           8
        .value_kind:     global_buffer
      - .actual_access:  write_only
        .address_space:  global
        .offset:         64
        .size:           8
        .value_kind:     global_buffer
      - .offset:         72
        .size:           4
        .value_kind:     by_value
      - .offset:         76
        .size:           1
        .value_kind:     by_value
    .group_segment_fixed_size: 2048
    .kernarg_segment_align: 8
    .kernarg_segment_size: 80
    .language:       OpenCL C
    .language_version:
      - 2
      - 0
    .max_flat_workgroup_size: 256
    .name:           _ZN9rocsparseL26coomvn_aos_segmented_loopsILj256EiDF16_DF16_ffEEvlT0_NS_24const_host_device_scalarIT4_EEPKS1_PKT1_PKT2_PT3_PS1_PS3_21rocsparse_index_base_b
    .private_segment_fixed_size: 0
    .sgpr_count:     34
    .sgpr_spill_count: 0
    .symbol:         _ZN9rocsparseL26coomvn_aos_segmented_loopsILj256EiDF16_DF16_ffEEvlT0_NS_24const_host_device_scalarIT4_EEPKS1_PKT1_PKT2_PT3_PS1_PS3_21rocsparse_index_base_b.kd
    .uniform_work_group_size: 1
    .uses_dynamic_stack: false
    .vgpr_count:     31
    .vgpr_spill_count: 0
    .wavefront_size: 32
    .workgroup_processor_mode: 1
  - .args:
      - .offset:         0
        .size:           8
        .value_kind:     by_value
      - .offset:         8
        .size:           8
        .value_kind:     by_value
      - .actual_access:  read_only
        .address_space:  global
        .offset:         16
        .size:           8
        .value_kind:     global_buffer
      - .actual_access:  read_only
        .address_space:  global
        .offset:         24
        .size:           8
        .value_kind:     global_buffer
      - .actual_access:  read_only
        .address_space:  global
        .offset:         32
        .size:           8
        .value_kind:     global_buffer
      - .address_space:  global
        .offset:         40
        .size:           8
        .value_kind:     global_buffer
      - .offset:         48
        .size:           4
        .value_kind:     by_value
      - .offset:         52
        .size:           1
        .value_kind:     by_value
    .group_segment_fixed_size: 3072
    .kernarg_segment_align: 8
    .kernarg_segment_size: 56
    .language:       OpenCL C
    .language_version:
      - 2
      - 0
    .max_flat_workgroup_size: 256
    .name:           _ZN9rocsparseL23coomvn_aos_atomic_loopsILj256ELj1ElDF16_DF16_ffEEvlNS_24const_host_device_scalarIT5_EEPKT1_PKT2_PKT3_PT4_21rocsparse_index_base_b
    .private_segment_fixed_size: 0
    .sgpr_count:     18
    .sgpr_spill_count: 0
    .symbol:         _ZN9rocsparseL23coomvn_aos_atomic_loopsILj256ELj1ElDF16_DF16_ffEEvlNS_24const_host_device_scalarIT5_EEPKT1_PKT2_PKT3_PT4_21rocsparse_index_base_b.kd
    .uniform_work_group_size: 1
    .uses_dynamic_stack: false
    .vgpr_count:     9
    .vgpr_spill_count: 0
    .wavefront_size: 32
    .workgroup_processor_mode: 1
  - .args:
      - .offset:         0
        .size:           4
        .value_kind:     by_value
      - .offset:         8
        .size:           8
        .value_kind:     by_value
      - .offset:         16
        .size:           8
        .value_kind:     by_value
      - .actual_access:  read_only
        .address_space:  global
        .offset:         24
        .size:           8
        .value_kind:     global_buffer
      - .actual_access:  read_only
        .address_space:  global
        .offset:         32
        .size:           8
        .value_kind:     global_buffer
      - .actual_access:  read_only
        .address_space:  global
        .offset:         40
        .size:           8
        .value_kind:     global_buffer
      - .address_space:  global
        .offset:         48
        .size:           8
        .value_kind:     global_buffer
      - .offset:         56
        .size:           4
        .value_kind:     by_value
      - .offset:         60
        .size:           1
        .value_kind:     by_value
      - .offset:         64
        .size:           4
        .value_kind:     hidden_block_count_x
      - .offset:         68
        .size:           4
        .value_kind:     hidden_block_count_y
      - .offset:         72
        .size:           4
        .value_kind:     hidden_block_count_z
      - .offset:         76
        .size:           2
        .value_kind:     hidden_group_size_x
      - .offset:         78
        .size:           2
        .value_kind:     hidden_group_size_y
      - .offset:         80
        .size:           2
        .value_kind:     hidden_group_size_z
      - .offset:         82
        .size:           2
        .value_kind:     hidden_remainder_x
      - .offset:         84
        .size:           2
        .value_kind:     hidden_remainder_y
      - .offset:         86
        .size:           2
        .value_kind:     hidden_remainder_z
      - .offset:         104
        .size:           8
        .value_kind:     hidden_global_offset_x
      - .offset:         112
        .size:           8
        .value_kind:     hidden_global_offset_y
      - .offset:         120
        .size:           8
        .value_kind:     hidden_global_offset_z
      - .offset:         128
        .size:           2
        .value_kind:     hidden_grid_dims
    .group_segment_fixed_size: 0
    .kernarg_segment_align: 8
    .kernarg_segment_size: 320
    .language:       OpenCL C
    .language_version:
      - 2
      - 0
    .max_flat_workgroup_size: 1024
    .name:           _ZN9rocsparseL17coomvt_aos_kernelILj1024ElDF16_DF16_ffEEv20rocsparse_operation_lNS_24const_host_device_scalarIT4_EEPKT0_PKT1_PKT2_PT3_21rocsparse_index_base_b
    .private_segment_fixed_size: 0
    .sgpr_count:     18
    .sgpr_spill_count: 0
    .symbol:         _ZN9rocsparseL17coomvt_aos_kernelILj1024ElDF16_DF16_ffEEv20rocsparse_operation_lNS_24const_host_device_scalarIT4_EEPKT0_PKT1_PKT2_PT3_21rocsparse_index_base_b.kd
    .uniform_work_group_size: 1
    .uses_dynamic_stack: false
    .vgpr_count:     7
    .vgpr_spill_count: 0
    .wavefront_size: 32
    .workgroup_processor_mode: 1
  - .args:
      - .offset:         0
        .size:           8
        .value_kind:     by_value
      - .offset:         8
        .size:           8
        .value_kind:     by_value
      - .offset:         16
        .size:           8
        .value_kind:     by_value
      - .actual_access:  read_only
        .address_space:  global
        .offset:         24
        .size:           8
        .value_kind:     global_buffer
      - .actual_access:  read_only
        .address_space:  global
        .offset:         32
        .size:           8
        .value_kind:     global_buffer
      - .actual_access:  read_only
        .address_space:  global
        .offset:         40
        .size:           8
        .value_kind:     global_buffer
      - .address_space:  global
        .offset:         48
        .size:           8
        .value_kind:     global_buffer
      - .actual_access:  write_only
        .address_space:  global
        .offset:         56
        .size:           8
        .value_kind:     global_buffer
      - .actual_access:  write_only
        .address_space:  global
        .offset:         64
        .size:           8
        .value_kind:     global_buffer
      - .offset:         72
        .size:           4
        .value_kind:     by_value
      - .offset:         76
        .size:           1
        .value_kind:     by_value
    .group_segment_fixed_size: 3072
    .kernarg_segment_align: 8
    .kernarg_segment_size: 80
    .language:       OpenCL C
    .language_version:
      - 2
      - 0
    .max_flat_workgroup_size: 256
    .name:           _ZN9rocsparseL26coomvn_aos_segmented_loopsILj256ElDF16_DF16_ffEEvlT0_NS_24const_host_device_scalarIT4_EEPKS1_PKT1_PKT2_PT3_PS1_PS3_21rocsparse_index_base_b
    .private_segment_fixed_size: 0
    .sgpr_count:     42
    .sgpr_spill_count: 0
    .symbol:         _ZN9rocsparseL26coomvn_aos_segmented_loopsILj256ElDF16_DF16_ffEEvlT0_NS_24const_host_device_scalarIT4_EEPKS1_PKT1_PKT2_PT3_PS1_PS3_21rocsparse_index_base_b.kd
    .uniform_work_group_size: 1
    .uses_dynamic_stack: false
    .vgpr_count:     35
    .vgpr_spill_count: 0
    .wavefront_size: 32
    .workgroup_processor_mode: 1
  - .args:
      - .offset:         0
        .size:           8
        .value_kind:     by_value
      - .offset:         8
        .size:           8
        .value_kind:     by_value
      - .actual_access:  read_only
        .address_space:  global
        .offset:         16
        .size:           8
        .value_kind:     global_buffer
      - .actual_access:  read_only
        .address_space:  global
        .offset:         24
        .size:           8
        .value_kind:     global_buffer
      - .actual_access:  read_only
        .address_space:  global
        .offset:         32
        .size:           8
        .value_kind:     global_buffer
      - .address_space:  global
        .offset:         40
        .size:           8
        .value_kind:     global_buffer
      - .offset:         48
        .size:           4
        .value_kind:     by_value
      - .offset:         52
        .size:           1
        .value_kind:     by_value
    .group_segment_fixed_size: 2048
    .kernarg_segment_align: 8
    .kernarg_segment_size: 56
    .language:       OpenCL C
    .language_version:
      - 2
      - 0
    .max_flat_workgroup_size: 256
    .name:           _ZN9rocsparseL23coomvn_aos_atomic_loopsILj256ELj1Ei18rocsparse_bfloat16S1_ffEEvlNS_24const_host_device_scalarIT5_EEPKT1_PKT2_PKT3_PT4_21rocsparse_index_base_b
    .private_segment_fixed_size: 0
    .sgpr_count:     18
    .sgpr_spill_count: 0
    .symbol:         _ZN9rocsparseL23coomvn_aos_atomic_loopsILj256ELj1Ei18rocsparse_bfloat16S1_ffEEvlNS_24const_host_device_scalarIT5_EEPKT1_PKT2_PKT3_PT4_21rocsparse_index_base_b.kd
    .uniform_work_group_size: 1
    .uses_dynamic_stack: false
    .vgpr_count:     8
    .vgpr_spill_count: 0
    .wavefront_size: 32
    .workgroup_processor_mode: 1
  - .args:
      - .offset:         0
        .size:           4
        .value_kind:     by_value
      - .offset:         8
        .size:           8
        .value_kind:     by_value
      - .offset:         16
        .size:           8
        .value_kind:     by_value
      - .actual_access:  read_only
        .address_space:  global
        .offset:         24
        .size:           8
        .value_kind:     global_buffer
      - .actual_access:  read_only
        .address_space:  global
        .offset:         32
        .size:           8
        .value_kind:     global_buffer
      - .actual_access:  read_only
        .address_space:  global
        .offset:         40
        .size:           8
        .value_kind:     global_buffer
      - .address_space:  global
        .offset:         48
        .size:           8
        .value_kind:     global_buffer
      - .offset:         56
        .size:           4
        .value_kind:     by_value
      - .offset:         60
        .size:           1
        .value_kind:     by_value
      - .offset:         64
        .size:           4
        .value_kind:     hidden_block_count_x
      - .offset:         68
        .size:           4
        .value_kind:     hidden_block_count_y
      - .offset:         72
        .size:           4
        .value_kind:     hidden_block_count_z
      - .offset:         76
        .size:           2
        .value_kind:     hidden_group_size_x
      - .offset:         78
        .size:           2
        .value_kind:     hidden_group_size_y
      - .offset:         80
        .size:           2
        .value_kind:     hidden_group_size_z
      - .offset:         82
        .size:           2
        .value_kind:     hidden_remainder_x
      - .offset:         84
        .size:           2
        .value_kind:     hidden_remainder_y
      - .offset:         86
        .size:           2
        .value_kind:     hidden_remainder_z
      - .offset:         104
        .size:           8
        .value_kind:     hidden_global_offset_x
      - .offset:         112
        .size:           8
        .value_kind:     hidden_global_offset_y
      - .offset:         120
        .size:           8
        .value_kind:     hidden_global_offset_z
      - .offset:         128
        .size:           2
        .value_kind:     hidden_grid_dims
    .group_segment_fixed_size: 0
    .kernarg_segment_align: 8
    .kernarg_segment_size: 320
    .language:       OpenCL C
    .language_version:
      - 2
      - 0
    .max_flat_workgroup_size: 1024
    .name:           _ZN9rocsparseL17coomvt_aos_kernelILj1024Ei18rocsparse_bfloat16S1_ffEEv20rocsparse_operation_lNS_24const_host_device_scalarIT4_EEPKT0_PKT1_PKT2_PT3_21rocsparse_index_base_b
    .private_segment_fixed_size: 0
    .sgpr_count:     18
    .sgpr_spill_count: 0
    .symbol:         _ZN9rocsparseL17coomvt_aos_kernelILj1024Ei18rocsparse_bfloat16S1_ffEEv20rocsparse_operation_lNS_24const_host_device_scalarIT4_EEPKT0_PKT1_PKT2_PT3_21rocsparse_index_base_b.kd
    .uniform_work_group_size: 1
    .uses_dynamic_stack: false
    .vgpr_count:     7
    .vgpr_spill_count: 0
    .wavefront_size: 32
    .workgroup_processor_mode: 1
  - .args:
      - .offset:         0
        .size:           8
        .value_kind:     by_value
      - .offset:         8
        .size:           4
        .value_kind:     by_value
      - .offset:         16
        .size:           8
        .value_kind:     by_value
      - .actual_access:  read_only
        .address_space:  global
        .offset:         24
        .size:           8
        .value_kind:     global_buffer
      - .actual_access:  read_only
        .address_space:  global
        .offset:         32
        .size:           8
        .value_kind:     global_buffer
      - .actual_access:  read_only
        .address_space:  global
        .offset:         40
        .size:           8
        .value_kind:     global_buffer
      - .address_space:  global
        .offset:         48
        .size:           8
        .value_kind:     global_buffer
      - .actual_access:  write_only
        .address_space:  global
        .offset:         56
        .size:           8
        .value_kind:     global_buffer
      - .actual_access:  write_only
        .address_space:  global
        .offset:         64
        .size:           8
        .value_kind:     global_buffer
      - .offset:         72
        .size:           4
        .value_kind:     by_value
      - .offset:         76
        .size:           1
        .value_kind:     by_value
    .group_segment_fixed_size: 2048
    .kernarg_segment_align: 8
    .kernarg_segment_size: 80
    .language:       OpenCL C
    .language_version:
      - 2
      - 0
    .max_flat_workgroup_size: 256
    .name:           _ZN9rocsparseL26coomvn_aos_segmented_loopsILj256Ei18rocsparse_bfloat16S1_ffEEvlT0_NS_24const_host_device_scalarIT4_EEPKS2_PKT1_PKT2_PT3_PS2_PS4_21rocsparse_index_base_b
    .private_segment_fixed_size: 0
    .sgpr_count:     34
    .sgpr_spill_count: 0
    .symbol:         _ZN9rocsparseL26coomvn_aos_segmented_loopsILj256Ei18rocsparse_bfloat16S1_ffEEvlT0_NS_24const_host_device_scalarIT4_EEPKS2_PKT1_PKT2_PT3_PS2_PS4_21rocsparse_index_base_b.kd
    .uniform_work_group_size: 1
    .uses_dynamic_stack: false
    .vgpr_count:     31
    .vgpr_spill_count: 0
    .wavefront_size: 32
    .workgroup_processor_mode: 1
  - .args:
      - .offset:         0
        .size:           8
        .value_kind:     by_value
      - .offset:         8
        .size:           8
        .value_kind:     by_value
      - .actual_access:  read_only
        .address_space:  global
        .offset:         16
        .size:           8
        .value_kind:     global_buffer
      - .actual_access:  read_only
        .address_space:  global
        .offset:         24
        .size:           8
        .value_kind:     global_buffer
      - .actual_access:  read_only
        .address_space:  global
        .offset:         32
        .size:           8
        .value_kind:     global_buffer
      - .address_space:  global
        .offset:         40
        .size:           8
        .value_kind:     global_buffer
      - .offset:         48
        .size:           4
        .value_kind:     by_value
      - .offset:         52
        .size:           1
        .value_kind:     by_value
    .group_segment_fixed_size: 3072
    .kernarg_segment_align: 8
    .kernarg_segment_size: 56
    .language:       OpenCL C
    .language_version:
      - 2
      - 0
    .max_flat_workgroup_size: 256
    .name:           _ZN9rocsparseL23coomvn_aos_atomic_loopsILj256ELj1El18rocsparse_bfloat16S1_ffEEvlNS_24const_host_device_scalarIT5_EEPKT1_PKT2_PKT3_PT4_21rocsparse_index_base_b
    .private_segment_fixed_size: 0
    .sgpr_count:     18
    .sgpr_spill_count: 0
    .symbol:         _ZN9rocsparseL23coomvn_aos_atomic_loopsILj256ELj1El18rocsparse_bfloat16S1_ffEEvlNS_24const_host_device_scalarIT5_EEPKT1_PKT2_PKT3_PT4_21rocsparse_index_base_b.kd
    .uniform_work_group_size: 1
    .uses_dynamic_stack: false
    .vgpr_count:     9
    .vgpr_spill_count: 0
    .wavefront_size: 32
    .workgroup_processor_mode: 1
  - .args:
      - .offset:         0
        .size:           4
        .value_kind:     by_value
      - .offset:         8
        .size:           8
        .value_kind:     by_value
      - .offset:         16
        .size:           8
        .value_kind:     by_value
      - .actual_access:  read_only
        .address_space:  global
        .offset:         24
        .size:           8
        .value_kind:     global_buffer
      - .actual_access:  read_only
        .address_space:  global
        .offset:         32
        .size:           8
        .value_kind:     global_buffer
      - .actual_access:  read_only
        .address_space:  global
        .offset:         40
        .size:           8
        .value_kind:     global_buffer
      - .address_space:  global
        .offset:         48
        .size:           8
        .value_kind:     global_buffer
      - .offset:         56
        .size:           4
        .value_kind:     by_value
      - .offset:         60
        .size:           1
        .value_kind:     by_value
      - .offset:         64
        .size:           4
        .value_kind:     hidden_block_count_x
      - .offset:         68
        .size:           4
        .value_kind:     hidden_block_count_y
      - .offset:         72
        .size:           4
        .value_kind:     hidden_block_count_z
      - .offset:         76
        .size:           2
        .value_kind:     hidden_group_size_x
      - .offset:         78
        .size:           2
        .value_kind:     hidden_group_size_y
      - .offset:         80
        .size:           2
        .value_kind:     hidden_group_size_z
      - .offset:         82
        .size:           2
        .value_kind:     hidden_remainder_x
      - .offset:         84
        .size:           2
        .value_kind:     hidden_remainder_y
      - .offset:         86
        .size:           2
        .value_kind:     hidden_remainder_z
      - .offset:         104
        .size:           8
        .value_kind:     hidden_global_offset_x
      - .offset:         112
        .size:           8
        .value_kind:     hidden_global_offset_y
      - .offset:         120
        .size:           8
        .value_kind:     hidden_global_offset_z
      - .offset:         128
        .size:           2
        .value_kind:     hidden_grid_dims
    .group_segment_fixed_size: 0
    .kernarg_segment_align: 8
    .kernarg_segment_size: 320
    .language:       OpenCL C
    .language_version:
      - 2
      - 0
    .max_flat_workgroup_size: 1024
    .name:           _ZN9rocsparseL17coomvt_aos_kernelILj1024El18rocsparse_bfloat16S1_ffEEv20rocsparse_operation_lNS_24const_host_device_scalarIT4_EEPKT0_PKT1_PKT2_PT3_21rocsparse_index_base_b
    .private_segment_fixed_size: 0
    .sgpr_count:     18
    .sgpr_spill_count: 0
    .symbol:         _ZN9rocsparseL17coomvt_aos_kernelILj1024El18rocsparse_bfloat16S1_ffEEv20rocsparse_operation_lNS_24const_host_device_scalarIT4_EEPKT0_PKT1_PKT2_PT3_21rocsparse_index_base_b.kd
    .uniform_work_group_size: 1
    .uses_dynamic_stack: false
    .vgpr_count:     7
    .vgpr_spill_count: 0
    .wavefront_size: 32
    .workgroup_processor_mode: 1
  - .args:
      - .offset:         0
        .size:           8
        .value_kind:     by_value
      - .offset:         8
        .size:           8
        .value_kind:     by_value
      - .offset:         16
        .size:           8
        .value_kind:     by_value
      - .actual_access:  read_only
        .address_space:  global
        .offset:         24
        .size:           8
        .value_kind:     global_buffer
      - .actual_access:  read_only
        .address_space:  global
        .offset:         32
        .size:           8
        .value_kind:     global_buffer
      - .actual_access:  read_only
        .address_space:  global
        .offset:         40
        .size:           8
        .value_kind:     global_buffer
      - .address_space:  global
        .offset:         48
        .size:           8
        .value_kind:     global_buffer
      - .actual_access:  write_only
        .address_space:  global
        .offset:         56
        .size:           8
        .value_kind:     global_buffer
      - .actual_access:  write_only
        .address_space:  global
        .offset:         64
        .size:           8
        .value_kind:     global_buffer
      - .offset:         72
        .size:           4
        .value_kind:     by_value
      - .offset:         76
        .size:           1
        .value_kind:     by_value
    .group_segment_fixed_size: 3072
    .kernarg_segment_align: 8
    .kernarg_segment_size: 80
    .language:       OpenCL C
    .language_version:
      - 2
      - 0
    .max_flat_workgroup_size: 256
    .name:           _ZN9rocsparseL26coomvn_aos_segmented_loopsILj256El18rocsparse_bfloat16S1_ffEEvlT0_NS_24const_host_device_scalarIT4_EEPKS2_PKT1_PKT2_PT3_PS2_PS4_21rocsparse_index_base_b
    .private_segment_fixed_size: 0
    .sgpr_count:     42
    .sgpr_spill_count: 0
    .symbol:         _ZN9rocsparseL26coomvn_aos_segmented_loopsILj256El18rocsparse_bfloat16S1_ffEEvlT0_NS_24const_host_device_scalarIT4_EEPKS2_PKT1_PKT2_PT3_PS2_PS4_21rocsparse_index_base_b.kd
    .uniform_work_group_size: 1
    .uses_dynamic_stack: false
    .vgpr_count:     35
    .vgpr_spill_count: 0
    .wavefront_size: 32
    .workgroup_processor_mode: 1
  - .args:
      - .offset:         0
        .size:           8
        .value_kind:     by_value
      - .offset:         8
        .size:           8
        .value_kind:     by_value
      - .actual_access:  read_only
        .address_space:  global
        .offset:         16
        .size:           8
        .value_kind:     global_buffer
      - .actual_access:  read_only
        .address_space:  global
        .offset:         24
        .size:           8
        .value_kind:     global_buffer
      - .actual_access:  read_only
        .address_space:  global
        .offset:         32
        .size:           8
        .value_kind:     global_buffer
      - .address_space:  global
        .offset:         40
        .size:           8
        .value_kind:     global_buffer
      - .offset:         48
        .size:           4
        .value_kind:     by_value
      - .offset:         52
        .size:           1
        .value_kind:     by_value
    .group_segment_fixed_size: 3072
    .kernarg_segment_align: 8
    .kernarg_segment_size: 56
    .language:       OpenCL C
    .language_version:
      - 2
      - 0
    .max_flat_workgroup_size: 256
    .name:           _ZN9rocsparseL23coomvn_aos_atomic_loopsILj256ELj1Eif21rocsparse_complex_numIfES2_S2_EEvlNS_24const_host_device_scalarIT5_EEPKT1_PKT2_PKT3_PT4_21rocsparse_index_base_b
    .private_segment_fixed_size: 0
    .sgpr_count:     18
    .sgpr_spill_count: 0
    .symbol:         _ZN9rocsparseL23coomvn_aos_atomic_loopsILj256ELj1Eif21rocsparse_complex_numIfES2_S2_EEvlNS_24const_host_device_scalarIT5_EEPKT1_PKT2_PKT3_PT4_21rocsparse_index_base_b.kd
    .uniform_work_group_size: 1
    .uses_dynamic_stack: false
    .vgpr_count:     12
    .vgpr_spill_count: 0
    .wavefront_size: 32
    .workgroup_processor_mode: 1
  - .args:
      - .offset:         0
        .size:           4
        .value_kind:     by_value
      - .offset:         8
        .size:           8
        .value_kind:     by_value
      - .offset:         16
        .size:           8
        .value_kind:     by_value
      - .actual_access:  read_only
        .address_space:  global
        .offset:         24
        .size:           8
        .value_kind:     global_buffer
      - .actual_access:  read_only
        .address_space:  global
        .offset:         32
        .size:           8
        .value_kind:     global_buffer
      - .actual_access:  read_only
        .address_space:  global
        .offset:         40
        .size:           8
        .value_kind:     global_buffer
      - .address_space:  global
        .offset:         48
        .size:           8
        .value_kind:     global_buffer
      - .offset:         56
        .size:           4
        .value_kind:     by_value
      - .offset:         60
        .size:           1
        .value_kind:     by_value
      - .offset:         64
        .size:           4
        .value_kind:     hidden_block_count_x
      - .offset:         68
        .size:           4
        .value_kind:     hidden_block_count_y
      - .offset:         72
        .size:           4
        .value_kind:     hidden_block_count_z
      - .offset:         76
        .size:           2
        .value_kind:     hidden_group_size_x
      - .offset:         78
        .size:           2
        .value_kind:     hidden_group_size_y
      - .offset:         80
        .size:           2
        .value_kind:     hidden_group_size_z
      - .offset:         82
        .size:           2
        .value_kind:     hidden_remainder_x
      - .offset:         84
        .size:           2
        .value_kind:     hidden_remainder_y
      - .offset:         86
        .size:           2
        .value_kind:     hidden_remainder_z
      - .offset:         104
        .size:           8
        .value_kind:     hidden_global_offset_x
      - .offset:         112
        .size:           8
        .value_kind:     hidden_global_offset_y
      - .offset:         120
        .size:           8
        .value_kind:     hidden_global_offset_z
      - .offset:         128
        .size:           2
        .value_kind:     hidden_grid_dims
    .group_segment_fixed_size: 0
    .kernarg_segment_align: 8
    .kernarg_segment_size: 320
    .language:       OpenCL C
    .language_version:
      - 2
      - 0
    .max_flat_workgroup_size: 1024
    .name:           _ZN9rocsparseL17coomvt_aos_kernelILj1024Eif21rocsparse_complex_numIfES2_S2_EEv20rocsparse_operation_lNS_24const_host_device_scalarIT4_EEPKT0_PKT1_PKT2_PT3_21rocsparse_index_base_b
    .private_segment_fixed_size: 0
    .sgpr_count:     18
    .sgpr_spill_count: 0
    .symbol:         _ZN9rocsparseL17coomvt_aos_kernelILj1024Eif21rocsparse_complex_numIfES2_S2_EEv20rocsparse_operation_lNS_24const_host_device_scalarIT4_EEPKT0_PKT1_PKT2_PT3_21rocsparse_index_base_b.kd
    .uniform_work_group_size: 1
    .uses_dynamic_stack: false
    .vgpr_count:     10
    .vgpr_spill_count: 0
    .wavefront_size: 32
    .workgroup_processor_mode: 1
  - .args:
      - .offset:         0
        .size:           8
        .value_kind:     by_value
      - .offset:         8
        .size:           4
        .value_kind:     by_value
      - .offset:         16
        .size:           8
        .value_kind:     by_value
      - .actual_access:  read_only
        .address_space:  global
        .offset:         24
        .size:           8
        .value_kind:     global_buffer
      - .actual_access:  read_only
        .address_space:  global
        .offset:         32
        .size:           8
        .value_kind:     global_buffer
      - .actual_access:  read_only
        .address_space:  global
        .offset:         40
        .size:           8
        .value_kind:     global_buffer
      - .address_space:  global
        .offset:         48
        .size:           8
        .value_kind:     global_buffer
      - .actual_access:  write_only
        .address_space:  global
        .offset:         56
        .size:           8
        .value_kind:     global_buffer
      - .actual_access:  write_only
        .address_space:  global
        .offset:         64
        .size:           8
        .value_kind:     global_buffer
      - .offset:         72
        .size:           4
        .value_kind:     by_value
      - .offset:         76
        .size:           1
        .value_kind:     by_value
    .group_segment_fixed_size: 3072
    .kernarg_segment_align: 8
    .kernarg_segment_size: 80
    .language:       OpenCL C
    .language_version:
      - 2
      - 0
    .max_flat_workgroup_size: 256
    .name:           _ZN9rocsparseL26coomvn_aos_segmented_loopsILj256Eif21rocsparse_complex_numIfES2_S2_EEvlT0_NS_24const_host_device_scalarIT4_EEPKS3_PKT1_PKT2_PT3_PS3_PS5_21rocsparse_index_base_b
    .private_segment_fixed_size: 0
    .sgpr_count:     32
    .sgpr_spill_count: 0
    .symbol:         _ZN9rocsparseL26coomvn_aos_segmented_loopsILj256Eif21rocsparse_complex_numIfES2_S2_EEvlT0_NS_24const_host_device_scalarIT4_EEPKS3_PKT1_PKT2_PT3_PS3_PS5_21rocsparse_index_base_b.kd
    .uniform_work_group_size: 1
    .uses_dynamic_stack: false
    .vgpr_count:     36
    .vgpr_spill_count: 0
    .wavefront_size: 32
    .workgroup_processor_mode: 1
  - .args:
      - .offset:         0
        .size:           8
        .value_kind:     by_value
      - .offset:         8
        .size:           8
        .value_kind:     by_value
      - .actual_access:  read_only
        .address_space:  global
        .offset:         16
        .size:           8
        .value_kind:     global_buffer
      - .actual_access:  read_only
        .address_space:  global
        .offset:         24
        .size:           8
        .value_kind:     global_buffer
      - .actual_access:  read_only
        .address_space:  global
        .offset:         32
        .size:           8
        .value_kind:     global_buffer
      - .address_space:  global
        .offset:         40
        .size:           8
        .value_kind:     global_buffer
      - .offset:         48
        .size:           4
        .value_kind:     by_value
      - .offset:         52
        .size:           1
        .value_kind:     by_value
    .group_segment_fixed_size: 4096
    .kernarg_segment_align: 8
    .kernarg_segment_size: 56
    .language:       OpenCL C
    .language_version:
      - 2
      - 0
    .max_flat_workgroup_size: 256
    .name:           _ZN9rocsparseL23coomvn_aos_atomic_loopsILj256ELj1Elf21rocsparse_complex_numIfES2_S2_EEvlNS_24const_host_device_scalarIT5_EEPKT1_PKT2_PKT3_PT4_21rocsparse_index_base_b
    .private_segment_fixed_size: 0
    .sgpr_count:     18
    .sgpr_spill_count: 0
    .symbol:         _ZN9rocsparseL23coomvn_aos_atomic_loopsILj256ELj1Elf21rocsparse_complex_numIfES2_S2_EEvlNS_24const_host_device_scalarIT5_EEPKT1_PKT2_PKT3_PT4_21rocsparse_index_base_b.kd
    .uniform_work_group_size: 1
    .uses_dynamic_stack: false
    .vgpr_count:     15
    .vgpr_spill_count: 0
    .wavefront_size: 32
    .workgroup_processor_mode: 1
  - .args:
      - .offset:         0
        .size:           4
        .value_kind:     by_value
      - .offset:         8
        .size:           8
        .value_kind:     by_value
      - .offset:         16
        .size:           8
        .value_kind:     by_value
      - .actual_access:  read_only
        .address_space:  global
        .offset:         24
        .size:           8
        .value_kind:     global_buffer
      - .actual_access:  read_only
        .address_space:  global
        .offset:         32
        .size:           8
        .value_kind:     global_buffer
      - .actual_access:  read_only
        .address_space:  global
        .offset:         40
        .size:           8
        .value_kind:     global_buffer
      - .address_space:  global
        .offset:         48
        .size:           8
        .value_kind:     global_buffer
      - .offset:         56
        .size:           4
        .value_kind:     by_value
      - .offset:         60
        .size:           1
        .value_kind:     by_value
      - .offset:         64
        .size:           4
        .value_kind:     hidden_block_count_x
      - .offset:         68
        .size:           4
        .value_kind:     hidden_block_count_y
      - .offset:         72
        .size:           4
        .value_kind:     hidden_block_count_z
      - .offset:         76
        .size:           2
        .value_kind:     hidden_group_size_x
      - .offset:         78
        .size:           2
        .value_kind:     hidden_group_size_y
      - .offset:         80
        .size:           2
        .value_kind:     hidden_group_size_z
      - .offset:         82
        .size:           2
        .value_kind:     hidden_remainder_x
      - .offset:         84
        .size:           2
        .value_kind:     hidden_remainder_y
      - .offset:         86
        .size:           2
        .value_kind:     hidden_remainder_z
      - .offset:         104
        .size:           8
        .value_kind:     hidden_global_offset_x
      - .offset:         112
        .size:           8
        .value_kind:     hidden_global_offset_y
      - .offset:         120
        .size:           8
        .value_kind:     hidden_global_offset_z
      - .offset:         128
        .size:           2
        .value_kind:     hidden_grid_dims
    .group_segment_fixed_size: 0
    .kernarg_segment_align: 8
    .kernarg_segment_size: 320
    .language:       OpenCL C
    .language_version:
      - 2
      - 0
    .max_flat_workgroup_size: 1024
    .name:           _ZN9rocsparseL17coomvt_aos_kernelILj1024Elf21rocsparse_complex_numIfES2_S2_EEv20rocsparse_operation_lNS_24const_host_device_scalarIT4_EEPKT0_PKT1_PKT2_PT3_21rocsparse_index_base_b
    .private_segment_fixed_size: 0
    .sgpr_count:     18
    .sgpr_spill_count: 0
    .symbol:         _ZN9rocsparseL17coomvt_aos_kernelILj1024Elf21rocsparse_complex_numIfES2_S2_EEv20rocsparse_operation_lNS_24const_host_device_scalarIT4_EEPKT0_PKT1_PKT2_PT3_21rocsparse_index_base_b.kd
    .uniform_work_group_size: 1
    .uses_dynamic_stack: false
    .vgpr_count:     12
    .vgpr_spill_count: 0
    .wavefront_size: 32
    .workgroup_processor_mode: 1
  - .args:
      - .offset:         0
        .size:           8
        .value_kind:     by_value
      - .offset:         8
        .size:           8
        .value_kind:     by_value
      - .offset:         16
        .size:           8
        .value_kind:     by_value
      - .actual_access:  read_only
        .address_space:  global
        .offset:         24
        .size:           8
        .value_kind:     global_buffer
      - .actual_access:  read_only
        .address_space:  global
        .offset:         32
        .size:           8
        .value_kind:     global_buffer
      - .actual_access:  read_only
        .address_space:  global
        .offset:         40
        .size:           8
        .value_kind:     global_buffer
      - .address_space:  global
        .offset:         48
        .size:           8
        .value_kind:     global_buffer
      - .actual_access:  write_only
        .address_space:  global
        .offset:         56
        .size:           8
        .value_kind:     global_buffer
      - .actual_access:  write_only
        .address_space:  global
        .offset:         64
        .size:           8
        .value_kind:     global_buffer
      - .offset:         72
        .size:           4
        .value_kind:     by_value
      - .offset:         76
        .size:           1
        .value_kind:     by_value
    .group_segment_fixed_size: 4096
    .kernarg_segment_align: 8
    .kernarg_segment_size: 80
    .language:       OpenCL C
    .language_version:
      - 2
      - 0
    .max_flat_workgroup_size: 256
    .name:           _ZN9rocsparseL26coomvn_aos_segmented_loopsILj256Elf21rocsparse_complex_numIfES2_S2_EEvlT0_NS_24const_host_device_scalarIT4_EEPKS3_PKT1_PKT2_PT3_PS3_PS5_21rocsparse_index_base_b
    .private_segment_fixed_size: 0
    .sgpr_count:     40
    .sgpr_spill_count: 0
    .symbol:         _ZN9rocsparseL26coomvn_aos_segmented_loopsILj256Elf21rocsparse_complex_numIfES2_S2_EEvlT0_NS_24const_host_device_scalarIT4_EEPKS3_PKT1_PKT2_PT3_PS3_PS5_21rocsparse_index_base_b.kd
    .uniform_work_group_size: 1
    .uses_dynamic_stack: false
    .vgpr_count:     38
    .vgpr_spill_count: 0
    .wavefront_size: 32
    .workgroup_processor_mode: 1
  - .args:
      - .offset:         0
        .size:           8
        .value_kind:     by_value
      - .offset:         8
        .size:           16
        .value_kind:     by_value
      - .actual_access:  read_only
        .address_space:  global
        .offset:         24
        .size:           8
        .value_kind:     global_buffer
      - .actual_access:  read_only
        .address_space:  global
        .offset:         32
        .size:           8
        .value_kind:     global_buffer
      - .actual_access:  read_only
        .address_space:  global
        .offset:         40
        .size:           8
        .value_kind:     global_buffer
      - .address_space:  global
        .offset:         48
        .size:           8
        .value_kind:     global_buffer
      - .offset:         56
        .size:           4
        .value_kind:     by_value
      - .offset:         60
        .size:           1
        .value_kind:     by_value
    .group_segment_fixed_size: 7168
    .kernarg_segment_align: 8
    .kernarg_segment_size: 64
    .language:       OpenCL C
    .language_version:
      - 2
      - 0
    .max_flat_workgroup_size: 256
    .name:           _ZN9rocsparseL23coomvn_aos_atomic_loopsILj256ELj1Eid21rocsparse_complex_numIdES2_S2_EEvlNS_24const_host_device_scalarIT5_EEPKT1_PKT2_PKT3_PT4_21rocsparse_index_base_b
    .private_segment_fixed_size: 0
    .sgpr_count:     18
    .sgpr_spill_count: 0
    .symbol:         _ZN9rocsparseL23coomvn_aos_atomic_loopsILj256ELj1Eid21rocsparse_complex_numIdES2_S2_EEvlNS_24const_host_device_scalarIT5_EEPKT1_PKT2_PKT3_PT4_21rocsparse_index_base_b.kd
    .uniform_work_group_size: 1
    .uses_dynamic_stack: false
    .vgpr_count:     18
    .vgpr_spill_count: 0
    .wavefront_size: 32
    .workgroup_processor_mode: 1
  - .args:
      - .offset:         0
        .size:           4
        .value_kind:     by_value
      - .offset:         8
        .size:           8
        .value_kind:     by_value
      - .offset:         16
        .size:           16
        .value_kind:     by_value
      - .actual_access:  read_only
        .address_space:  global
        .offset:         32
        .size:           8
        .value_kind:     global_buffer
      - .actual_access:  read_only
        .address_space:  global
        .offset:         40
        .size:           8
        .value_kind:     global_buffer
      - .actual_access:  read_only
        .address_space:  global
        .offset:         48
        .size:           8
        .value_kind:     global_buffer
      - .address_space:  global
        .offset:         56
        .size:           8
        .value_kind:     global_buffer
      - .offset:         64
        .size:           4
        .value_kind:     by_value
      - .offset:         68
        .size:           1
        .value_kind:     by_value
      - .offset:         72
        .size:           4
        .value_kind:     hidden_block_count_x
      - .offset:         76
        .size:           4
        .value_kind:     hidden_block_count_y
      - .offset:         80
        .size:           4
        .value_kind:     hidden_block_count_z
      - .offset:         84
        .size:           2
        .value_kind:     hidden_group_size_x
      - .offset:         86
        .size:           2
        .value_kind:     hidden_group_size_y
      - .offset:         88
        .size:           2
        .value_kind:     hidden_group_size_z
      - .offset:         90
        .size:           2
        .value_kind:     hidden_remainder_x
      - .offset:         92
        .size:           2
        .value_kind:     hidden_remainder_y
      - .offset:         94
        .size:           2
        .value_kind:     hidden_remainder_z
      - .offset:         112
        .size:           8
        .value_kind:     hidden_global_offset_x
      - .offset:         120
        .size:           8
        .value_kind:     hidden_global_offset_y
      - .offset:         128
        .size:           8
        .value_kind:     hidden_global_offset_z
      - .offset:         136
        .size:           2
        .value_kind:     hidden_grid_dims
    .group_segment_fixed_size: 8192
    .kernarg_segment_align: 8
    .kernarg_segment_size: 328
    .language:       OpenCL C
    .language_version:
      - 2
      - 0
    .max_flat_workgroup_size: 1024
    .name:           _ZN9rocsparseL17coomvt_aos_kernelILj1024Eid21rocsparse_complex_numIdES2_S2_EEv20rocsparse_operation_lNS_24const_host_device_scalarIT4_EEPKT0_PKT1_PKT2_PT3_21rocsparse_index_base_b
    .private_segment_fixed_size: 0
    .sgpr_count:     18
    .sgpr_spill_count: 0
    .symbol:         _ZN9rocsparseL17coomvt_aos_kernelILj1024Eid21rocsparse_complex_numIdES2_S2_EEv20rocsparse_operation_lNS_24const_host_device_scalarIT4_EEPKT0_PKT1_PKT2_PT3_21rocsparse_index_base_b.kd
    .uniform_work_group_size: 1
    .uses_dynamic_stack: false
    .vgpr_count:     18
    .vgpr_spill_count: 0
    .wavefront_size: 32
    .workgroup_processor_mode: 1
  - .args:
      - .offset:         0
        .size:           8
        .value_kind:     by_value
      - .offset:         8
        .size:           4
        .value_kind:     by_value
      - .offset:         16
        .size:           16
        .value_kind:     by_value
      - .actual_access:  read_only
        .address_space:  global
        .offset:         32
        .size:           8
        .value_kind:     global_buffer
      - .actual_access:  read_only
        .address_space:  global
        .offset:         40
        .size:           8
        .value_kind:     global_buffer
      - .actual_access:  read_only
        .address_space:  global
        .offset:         48
        .size:           8
        .value_kind:     global_buffer
      - .address_space:  global
        .offset:         56
        .size:           8
        .value_kind:     global_buffer
      - .actual_access:  write_only
        .address_space:  global
        .offset:         64
        .size:           8
        .value_kind:     global_buffer
      - .actual_access:  write_only
        .address_space:  global
        .offset:         72
        .size:           8
        .value_kind:     global_buffer
      - .offset:         80
        .size:           4
        .value_kind:     by_value
      - .offset:         84
        .size:           1
        .value_kind:     by_value
    .group_segment_fixed_size: 7168
    .kernarg_segment_align: 8
    .kernarg_segment_size: 88
    .language:       OpenCL C
    .language_version:
      - 2
      - 0
    .max_flat_workgroup_size: 256
    .name:           _ZN9rocsparseL26coomvn_aos_segmented_loopsILj256Eid21rocsparse_complex_numIdES2_S2_EEvlT0_NS_24const_host_device_scalarIT4_EEPKS3_PKT1_PKT2_PT3_PS3_PS5_21rocsparse_index_base_b
    .private_segment_fixed_size: 0
    .sgpr_count:     32
    .sgpr_spill_count: 0
    .symbol:         _ZN9rocsparseL26coomvn_aos_segmented_loopsILj256Eid21rocsparse_complex_numIdES2_S2_EEvlT0_NS_24const_host_device_scalarIT4_EEPKS3_PKT1_PKT2_PT3_PS3_PS5_21rocsparse_index_base_b.kd
    .uniform_work_group_size: 1
    .uses_dynamic_stack: false
    .vgpr_count:     43
    .vgpr_spill_count: 0
    .wavefront_size: 32
    .workgroup_processor_mode: 1
  - .args:
      - .offset:         0
        .size:           8
        .value_kind:     by_value
      - .offset:         8
        .size:           16
        .value_kind:     by_value
      - .actual_access:  read_only
        .address_space:  global
        .offset:         24
        .size:           8
        .value_kind:     global_buffer
      - .actual_access:  read_only
        .address_space:  global
        .offset:         32
        .size:           8
        .value_kind:     global_buffer
      - .actual_access:  read_only
        .address_space:  global
        .offset:         40
        .size:           8
        .value_kind:     global_buffer
      - .address_space:  global
        .offset:         48
        .size:           8
        .value_kind:     global_buffer
      - .offset:         56
        .size:           4
        .value_kind:     by_value
      - .offset:         60
        .size:           1
        .value_kind:     by_value
    .group_segment_fixed_size: 8192
    .kernarg_segment_align: 8
    .kernarg_segment_size: 64
    .language:       OpenCL C
    .language_version:
      - 2
      - 0
    .max_flat_workgroup_size: 256
    .name:           _ZN9rocsparseL23coomvn_aos_atomic_loopsILj256ELj1Eld21rocsparse_complex_numIdES2_S2_EEvlNS_24const_host_device_scalarIT5_EEPKT1_PKT2_PKT3_PT4_21rocsparse_index_base_b
    .private_segment_fixed_size: 0
    .sgpr_count:     18
    .sgpr_spill_count: 0
    .symbol:         _ZN9rocsparseL23coomvn_aos_atomic_loopsILj256ELj1Eld21rocsparse_complex_numIdES2_S2_EEvlNS_24const_host_device_scalarIT5_EEPKT1_PKT2_PKT3_PT4_21rocsparse_index_base_b.kd
    .uniform_work_group_size: 1
    .uses_dynamic_stack: false
    .vgpr_count:     19
    .vgpr_spill_count: 0
    .wavefront_size: 32
    .workgroup_processor_mode: 1
  - .args:
      - .offset:         0
        .size:           4
        .value_kind:     by_value
      - .offset:         8
        .size:           8
        .value_kind:     by_value
      - .offset:         16
        .size:           16
        .value_kind:     by_value
      - .actual_access:  read_only
        .address_space:  global
        .offset:         32
        .size:           8
        .value_kind:     global_buffer
      - .actual_access:  read_only
        .address_space:  global
        .offset:         40
        .size:           8
        .value_kind:     global_buffer
      - .actual_access:  read_only
        .address_space:  global
        .offset:         48
        .size:           8
        .value_kind:     global_buffer
      - .address_space:  global
        .offset:         56
        .size:           8
        .value_kind:     global_buffer
      - .offset:         64
        .size:           4
        .value_kind:     by_value
      - .offset:         68
        .size:           1
        .value_kind:     by_value
      - .offset:         72
        .size:           4
        .value_kind:     hidden_block_count_x
      - .offset:         76
        .size:           4
        .value_kind:     hidden_block_count_y
      - .offset:         80
        .size:           4
        .value_kind:     hidden_block_count_z
      - .offset:         84
        .size:           2
        .value_kind:     hidden_group_size_x
      - .offset:         86
        .size:           2
        .value_kind:     hidden_group_size_y
      - .offset:         88
        .size:           2
        .value_kind:     hidden_group_size_z
      - .offset:         90
        .size:           2
        .value_kind:     hidden_remainder_x
      - .offset:         92
        .size:           2
        .value_kind:     hidden_remainder_y
      - .offset:         94
        .size:           2
        .value_kind:     hidden_remainder_z
      - .offset:         112
        .size:           8
        .value_kind:     hidden_global_offset_x
      - .offset:         120
        .size:           8
        .value_kind:     hidden_global_offset_y
      - .offset:         128
        .size:           8
        .value_kind:     hidden_global_offset_z
      - .offset:         136
        .size:           2
        .value_kind:     hidden_grid_dims
    .group_segment_fixed_size: 8192
    .kernarg_segment_align: 8
    .kernarg_segment_size: 328
    .language:       OpenCL C
    .language_version:
      - 2
      - 0
    .max_flat_workgroup_size: 1024
    .name:           _ZN9rocsparseL17coomvt_aos_kernelILj1024Eld21rocsparse_complex_numIdES2_S2_EEv20rocsparse_operation_lNS_24const_host_device_scalarIT4_EEPKT0_PKT1_PKT2_PT3_21rocsparse_index_base_b
    .private_segment_fixed_size: 0
    .sgpr_count:     18
    .sgpr_spill_count: 0
    .symbol:         _ZN9rocsparseL17coomvt_aos_kernelILj1024Eld21rocsparse_complex_numIdES2_S2_EEv20rocsparse_operation_lNS_24const_host_device_scalarIT4_EEPKT0_PKT1_PKT2_PT3_21rocsparse_index_base_b.kd
    .uniform_work_group_size: 1
    .uses_dynamic_stack: false
    .vgpr_count:     18
    .vgpr_spill_count: 0
    .wavefront_size: 32
    .workgroup_processor_mode: 1
  - .args:
      - .offset:         0
        .size:           8
        .value_kind:     by_value
      - .offset:         8
        .size:           8
        .value_kind:     by_value
      - .offset:         16
        .size:           16
        .value_kind:     by_value
      - .actual_access:  read_only
        .address_space:  global
        .offset:         32
        .size:           8
        .value_kind:     global_buffer
      - .actual_access:  read_only
        .address_space:  global
        .offset:         40
        .size:           8
        .value_kind:     global_buffer
      - .actual_access:  read_only
        .address_space:  global
        .offset:         48
        .size:           8
        .value_kind:     global_buffer
      - .address_space:  global
        .offset:         56
        .size:           8
        .value_kind:     global_buffer
      - .actual_access:  write_only
        .address_space:  global
        .offset:         64
        .size:           8
        .value_kind:     global_buffer
      - .actual_access:  write_only
        .address_space:  global
        .offset:         72
        .size:           8
        .value_kind:     global_buffer
      - .offset:         80
        .size:           4
        .value_kind:     by_value
      - .offset:         84
        .size:           1
        .value_kind:     by_value
    .group_segment_fixed_size: 8192
    .kernarg_segment_align: 8
    .kernarg_segment_size: 88
    .language:       OpenCL C
    .language_version:
      - 2
      - 0
    .max_flat_workgroup_size: 256
    .name:           _ZN9rocsparseL26coomvn_aos_segmented_loopsILj256Eld21rocsparse_complex_numIdES2_S2_EEvlT0_NS_24const_host_device_scalarIT4_EEPKS3_PKT1_PKT2_PT3_PS3_PS5_21rocsparse_index_base_b
    .private_segment_fixed_size: 0
    .sgpr_count:     40
    .sgpr_spill_count: 0
    .symbol:         _ZN9rocsparseL26coomvn_aos_segmented_loopsILj256Eld21rocsparse_complex_numIdES2_S2_EEvlT0_NS_24const_host_device_scalarIT4_EEPKS3_PKT1_PKT2_PT3_PS3_PS5_21rocsparse_index_base_b.kd
    .uniform_work_group_size: 1
    .uses_dynamic_stack: false
    .vgpr_count:     46
    .vgpr_spill_count: 0
    .wavefront_size: 32
    .workgroup_processor_mode: 1
  - .args:
      - .offset:         0
        .size:           8
        .value_kind:     by_value
      - .offset:         8
        .size:           8
        .value_kind:     by_value
      - .actual_access:  read_only
        .address_space:  global
        .offset:         16
        .size:           8
        .value_kind:     global_buffer
      - .actual_access:  read_only
        .address_space:  global
        .offset:         24
        .size:           8
        .value_kind:     global_buffer
      - .actual_access:  read_only
        .address_space:  global
        .offset:         32
        .size:           8
        .value_kind:     global_buffer
      - .address_space:  global
        .offset:         40
        .size:           8
        .value_kind:     global_buffer
      - .offset:         48
        .size:           4
        .value_kind:     by_value
      - .offset:         52
        .size:           1
        .value_kind:     by_value
    .group_segment_fixed_size: 3072
    .kernarg_segment_align: 8
    .kernarg_segment_size: 56
    .language:       OpenCL C
    .language_version:
      - 2
      - 0
    .max_flat_workgroup_size: 256
    .name:           _ZN9rocsparseL23coomvn_aos_atomic_loopsILj256ELj1EifdddEEvlNS_24const_host_device_scalarIT5_EEPKT1_PKT2_PKT3_PT4_21rocsparse_index_base_b
    .private_segment_fixed_size: 0
    .sgpr_count:     18
    .sgpr_spill_count: 0
    .symbol:         _ZN9rocsparseL23coomvn_aos_atomic_loopsILj256ELj1EifdddEEvlNS_24const_host_device_scalarIT5_EEPKT1_PKT2_PKT3_PT4_21rocsparse_index_base_b.kd
    .uniform_work_group_size: 1
    .uses_dynamic_stack: false
    .vgpr_count:     14
    .vgpr_spill_count: 0
    .wavefront_size: 32
    .workgroup_processor_mode: 1
  - .args:
      - .offset:         0
        .size:           4
        .value_kind:     by_value
      - .offset:         8
        .size:           8
        .value_kind:     by_value
      - .offset:         16
        .size:           8
        .value_kind:     by_value
      - .actual_access:  read_only
        .address_space:  global
        .offset:         24
        .size:           8
        .value_kind:     global_buffer
      - .actual_access:  read_only
        .address_space:  global
        .offset:         32
        .size:           8
        .value_kind:     global_buffer
      - .actual_access:  read_only
        .address_space:  global
        .offset:         40
        .size:           8
        .value_kind:     global_buffer
      - .address_space:  global
        .offset:         48
        .size:           8
        .value_kind:     global_buffer
      - .offset:         56
        .size:           4
        .value_kind:     by_value
      - .offset:         60
        .size:           1
        .value_kind:     by_value
      - .offset:         64
        .size:           4
        .value_kind:     hidden_block_count_x
      - .offset:         68
        .size:           4
        .value_kind:     hidden_block_count_y
      - .offset:         72
        .size:           4
        .value_kind:     hidden_block_count_z
      - .offset:         76
        .size:           2
        .value_kind:     hidden_group_size_x
      - .offset:         78
        .size:           2
        .value_kind:     hidden_group_size_y
      - .offset:         80
        .size:           2
        .value_kind:     hidden_group_size_z
      - .offset:         82
        .size:           2
        .value_kind:     hidden_remainder_x
      - .offset:         84
        .size:           2
        .value_kind:     hidden_remainder_y
      - .offset:         86
        .size:           2
        .value_kind:     hidden_remainder_z
      - .offset:         104
        .size:           8
        .value_kind:     hidden_global_offset_x
      - .offset:         112
        .size:           8
        .value_kind:     hidden_global_offset_y
      - .offset:         120
        .size:           8
        .value_kind:     hidden_global_offset_z
      - .offset:         128
        .size:           2
        .value_kind:     hidden_grid_dims
    .group_segment_fixed_size: 0
    .kernarg_segment_align: 8
    .kernarg_segment_size: 320
    .language:       OpenCL C
    .language_version:
      - 2
      - 0
    .max_flat_workgroup_size: 1024
    .name:           _ZN9rocsparseL17coomvt_aos_kernelILj1024EifdddEEv20rocsparse_operation_lNS_24const_host_device_scalarIT4_EEPKT0_PKT1_PKT2_PT3_21rocsparse_index_base_b
    .private_segment_fixed_size: 0
    .sgpr_count:     18
    .sgpr_spill_count: 0
    .symbol:         _ZN9rocsparseL17coomvt_aos_kernelILj1024EifdddEEv20rocsparse_operation_lNS_24const_host_device_scalarIT4_EEPKT0_PKT1_PKT2_PT3_21rocsparse_index_base_b.kd
    .uniform_work_group_size: 1
    .uses_dynamic_stack: false
    .vgpr_count:     10
    .vgpr_spill_count: 0
    .wavefront_size: 32
    .workgroup_processor_mode: 1
  - .args:
      - .offset:         0
        .size:           8
        .value_kind:     by_value
      - .offset:         8
        .size:           4
        .value_kind:     by_value
      - .offset:         16
        .size:           8
        .value_kind:     by_value
      - .actual_access:  read_only
        .address_space:  global
        .offset:         24
        .size:           8
        .value_kind:     global_buffer
      - .actual_access:  read_only
        .address_space:  global
        .offset:         32
        .size:           8
        .value_kind:     global_buffer
      - .actual_access:  read_only
        .address_space:  global
        .offset:         40
        .size:           8
        .value_kind:     global_buffer
      - .address_space:  global
        .offset:         48
        .size:           8
        .value_kind:     global_buffer
      - .actual_access:  write_only
        .address_space:  global
        .offset:         56
        .size:           8
        .value_kind:     global_buffer
      - .actual_access:  write_only
        .address_space:  global
        .offset:         64
        .size:           8
        .value_kind:     global_buffer
      - .offset:         72
        .size:           4
        .value_kind:     by_value
      - .offset:         76
        .size:           1
        .value_kind:     by_value
    .group_segment_fixed_size: 3072
    .kernarg_segment_align: 8
    .kernarg_segment_size: 80
    .language:       OpenCL C
    .language_version:
      - 2
      - 0
    .max_flat_workgroup_size: 256
    .name:           _ZN9rocsparseL26coomvn_aos_segmented_loopsILj256EifdddEEvlT0_NS_24const_host_device_scalarIT4_EEPKS1_PKT1_PKT2_PT3_PS1_PS3_21rocsparse_index_base_b
    .private_segment_fixed_size: 0
    .sgpr_count:     32
    .sgpr_spill_count: 0
    .symbol:         _ZN9rocsparseL26coomvn_aos_segmented_loopsILj256EifdddEEvlT0_NS_24const_host_device_scalarIT4_EEPKS1_PKT1_PKT2_PT3_PS1_PS3_21rocsparse_index_base_b.kd
    .uniform_work_group_size: 1
    .uses_dynamic_stack: false
    .vgpr_count:     36
    .vgpr_spill_count: 0
    .wavefront_size: 32
    .workgroup_processor_mode: 1
  - .args:
      - .offset:         0
        .size:           8
        .value_kind:     by_value
      - .offset:         8
        .size:           8
        .value_kind:     by_value
      - .actual_access:  read_only
        .address_space:  global
        .offset:         16
        .size:           8
        .value_kind:     global_buffer
      - .actual_access:  read_only
        .address_space:  global
        .offset:         24
        .size:           8
        .value_kind:     global_buffer
      - .actual_access:  read_only
        .address_space:  global
        .offset:         32
        .size:           8
        .value_kind:     global_buffer
      - .address_space:  global
        .offset:         40
        .size:           8
        .value_kind:     global_buffer
      - .offset:         48
        .size:           4
        .value_kind:     by_value
      - .offset:         52
        .size:           1
        .value_kind:     by_value
    .group_segment_fixed_size: 4096
    .kernarg_segment_align: 8
    .kernarg_segment_size: 56
    .language:       OpenCL C
    .language_version:
      - 2
      - 0
    .max_flat_workgroup_size: 256
    .name:           _ZN9rocsparseL23coomvn_aos_atomic_loopsILj256ELj1ElfdddEEvlNS_24const_host_device_scalarIT5_EEPKT1_PKT2_PKT3_PT4_21rocsparse_index_base_b
    .private_segment_fixed_size: 0
    .sgpr_count:     18
    .sgpr_spill_count: 0
    .symbol:         _ZN9rocsparseL23coomvn_aos_atomic_loopsILj256ELj1ElfdddEEvlNS_24const_host_device_scalarIT5_EEPKT1_PKT2_PKT3_PT4_21rocsparse_index_base_b.kd
    .uniform_work_group_size: 1
    .uses_dynamic_stack: false
    .vgpr_count:     15
    .vgpr_spill_count: 0
    .wavefront_size: 32
    .workgroup_processor_mode: 1
  - .args:
      - .offset:         0
        .size:           4
        .value_kind:     by_value
      - .offset:         8
        .size:           8
        .value_kind:     by_value
      - .offset:         16
        .size:           8
        .value_kind:     by_value
      - .actual_access:  read_only
        .address_space:  global
        .offset:         24
        .size:           8
        .value_kind:     global_buffer
      - .actual_access:  read_only
        .address_space:  global
        .offset:         32
        .size:           8
        .value_kind:     global_buffer
      - .actual_access:  read_only
        .address_space:  global
        .offset:         40
        .size:           8
        .value_kind:     global_buffer
      - .address_space:  global
        .offset:         48
        .size:           8
        .value_kind:     global_buffer
      - .offset:         56
        .size:           4
        .value_kind:     by_value
      - .offset:         60
        .size:           1
        .value_kind:     by_value
      - .offset:         64
        .size:           4
        .value_kind:     hidden_block_count_x
      - .offset:         68
        .size:           4
        .value_kind:     hidden_block_count_y
      - .offset:         72
        .size:           4
        .value_kind:     hidden_block_count_z
      - .offset:         76
        .size:           2
        .value_kind:     hidden_group_size_x
      - .offset:         78
        .size:           2
        .value_kind:     hidden_group_size_y
      - .offset:         80
        .size:           2
        .value_kind:     hidden_group_size_z
      - .offset:         82
        .size:           2
        .value_kind:     hidden_remainder_x
      - .offset:         84
        .size:           2
        .value_kind:     hidden_remainder_y
      - .offset:         86
        .size:           2
        .value_kind:     hidden_remainder_z
      - .offset:         104
        .size:           8
        .value_kind:     hidden_global_offset_x
      - .offset:         112
        .size:           8
        .value_kind:     hidden_global_offset_y
      - .offset:         120
        .size:           8
        .value_kind:     hidden_global_offset_z
      - .offset:         128
        .size:           2
        .value_kind:     hidden_grid_dims
    .group_segment_fixed_size: 0
    .kernarg_segment_align: 8
    .kernarg_segment_size: 320
    .language:       OpenCL C
    .language_version:
      - 2
      - 0
    .max_flat_workgroup_size: 1024
    .name:           _ZN9rocsparseL17coomvt_aos_kernelILj1024ElfdddEEv20rocsparse_operation_lNS_24const_host_device_scalarIT4_EEPKT0_PKT1_PKT2_PT3_21rocsparse_index_base_b
    .private_segment_fixed_size: 0
    .sgpr_count:     18
    .sgpr_spill_count: 0
    .symbol:         _ZN9rocsparseL17coomvt_aos_kernelILj1024ElfdddEEv20rocsparse_operation_lNS_24const_host_device_scalarIT4_EEPKT0_PKT1_PKT2_PT3_21rocsparse_index_base_b.kd
    .uniform_work_group_size: 1
    .uses_dynamic_stack: false
    .vgpr_count:     11
    .vgpr_spill_count: 0
    .wavefront_size: 32
    .workgroup_processor_mode: 1
  - .args:
      - .offset:         0
        .size:           8
        .value_kind:     by_value
      - .offset:         8
        .size:           8
        .value_kind:     by_value
      - .offset:         16
        .size:           8
        .value_kind:     by_value
      - .actual_access:  read_only
        .address_space:  global
        .offset:         24
        .size:           8
        .value_kind:     global_buffer
      - .actual_access:  read_only
        .address_space:  global
        .offset:         32
        .size:           8
        .value_kind:     global_buffer
      - .actual_access:  read_only
        .address_space:  global
        .offset:         40
        .size:           8
        .value_kind:     global_buffer
      - .address_space:  global
        .offset:         48
        .size:           8
        .value_kind:     global_buffer
      - .actual_access:  write_only
        .address_space:  global
        .offset:         56
        .size:           8
        .value_kind:     global_buffer
      - .actual_access:  write_only
        .address_space:  global
        .offset:         64
        .size:           8
        .value_kind:     global_buffer
      - .offset:         72
        .size:           4
        .value_kind:     by_value
      - .offset:         76
        .size:           1
        .value_kind:     by_value
    .group_segment_fixed_size: 4096
    .kernarg_segment_align: 8
    .kernarg_segment_size: 80
    .language:       OpenCL C
    .language_version:
      - 2
      - 0
    .max_flat_workgroup_size: 256
    .name:           _ZN9rocsparseL26coomvn_aos_segmented_loopsILj256ElfdddEEvlT0_NS_24const_host_device_scalarIT4_EEPKS1_PKT1_PKT2_PT3_PS1_PS3_21rocsparse_index_base_b
    .private_segment_fixed_size: 0
    .sgpr_count:     40
    .sgpr_spill_count: 0
    .symbol:         _ZN9rocsparseL26coomvn_aos_segmented_loopsILj256ElfdddEEvlT0_NS_24const_host_device_scalarIT4_EEPKS1_PKT1_PKT2_PT3_PS1_PS3_21rocsparse_index_base_b.kd
    .uniform_work_group_size: 1
    .uses_dynamic_stack: false
    .vgpr_count:     38
    .vgpr_spill_count: 0
    .wavefront_size: 32
    .workgroup_processor_mode: 1
  - .args:
      - .offset:         0
        .size:           8
        .value_kind:     by_value
      - .offset:         8
        .size:           16
        .value_kind:     by_value
      - .actual_access:  read_only
        .address_space:  global
        .offset:         24
        .size:           8
        .value_kind:     global_buffer
      - .actual_access:  read_only
        .address_space:  global
        .offset:         32
        .size:           8
        .value_kind:     global_buffer
      - .actual_access:  read_only
        .address_space:  global
        .offset:         40
        .size:           8
        .value_kind:     global_buffer
      - .address_space:  global
        .offset:         48
        .size:           8
        .value_kind:     global_buffer
      - .offset:         56
        .size:           4
        .value_kind:     by_value
      - .offset:         60
        .size:           1
        .value_kind:     by_value
    .group_segment_fixed_size: 7168
    .kernarg_segment_align: 8
    .kernarg_segment_size: 64
    .language:       OpenCL C
    .language_version:
      - 2
      - 0
    .max_flat_workgroup_size: 256
    .name:           _ZN9rocsparseL23coomvn_aos_atomic_loopsILj256ELj1Ei21rocsparse_complex_numIfES1_IdES3_S3_EEvlNS_24const_host_device_scalarIT5_EEPKT1_PKT2_PKT3_PT4_21rocsparse_index_base_b
    .private_segment_fixed_size: 0
    .sgpr_count:     18
    .sgpr_spill_count: 0
    .symbol:         _ZN9rocsparseL23coomvn_aos_atomic_loopsILj256ELj1Ei21rocsparse_complex_numIfES1_IdES3_S3_EEvlNS_24const_host_device_scalarIT5_EEPKT1_PKT2_PKT3_PT4_21rocsparse_index_base_b.kd
    .uniform_work_group_size: 1
    .uses_dynamic_stack: false
    .vgpr_count:     18
    .vgpr_spill_count: 0
    .wavefront_size: 32
    .workgroup_processor_mode: 1
  - .args:
      - .offset:         0
        .size:           4
        .value_kind:     by_value
      - .offset:         8
        .size:           8
        .value_kind:     by_value
      - .offset:         16
        .size:           16
        .value_kind:     by_value
      - .actual_access:  read_only
        .address_space:  global
        .offset:         32
        .size:           8
        .value_kind:     global_buffer
      - .actual_access:  read_only
        .address_space:  global
        .offset:         40
        .size:           8
        .value_kind:     global_buffer
      - .actual_access:  read_only
        .address_space:  global
        .offset:         48
        .size:           8
        .value_kind:     global_buffer
      - .address_space:  global
        .offset:         56
        .size:           8
        .value_kind:     global_buffer
      - .offset:         64
        .size:           4
        .value_kind:     by_value
      - .offset:         68
        .size:           1
        .value_kind:     by_value
      - .offset:         72
        .size:           4
        .value_kind:     hidden_block_count_x
      - .offset:         76
        .size:           4
        .value_kind:     hidden_block_count_y
      - .offset:         80
        .size:           4
        .value_kind:     hidden_block_count_z
      - .offset:         84
        .size:           2
        .value_kind:     hidden_group_size_x
      - .offset:         86
        .size:           2
        .value_kind:     hidden_group_size_y
      - .offset:         88
        .size:           2
        .value_kind:     hidden_group_size_z
      - .offset:         90
        .size:           2
        .value_kind:     hidden_remainder_x
      - .offset:         92
        .size:           2
        .value_kind:     hidden_remainder_y
      - .offset:         94
        .size:           2
        .value_kind:     hidden_remainder_z
      - .offset:         112
        .size:           8
        .value_kind:     hidden_global_offset_x
      - .offset:         120
        .size:           8
        .value_kind:     hidden_global_offset_y
      - .offset:         128
        .size:           8
        .value_kind:     hidden_global_offset_z
      - .offset:         136
        .size:           2
        .value_kind:     hidden_grid_dims
    .group_segment_fixed_size: 8192
    .kernarg_segment_align: 8
    .kernarg_segment_size: 328
    .language:       OpenCL C
    .language_version:
      - 2
      - 0
    .max_flat_workgroup_size: 1024
    .name:           _ZN9rocsparseL17coomvt_aos_kernelILj1024Ei21rocsparse_complex_numIfES1_IdES3_S3_EEv20rocsparse_operation_lNS_24const_host_device_scalarIT4_EEPKT0_PKT1_PKT2_PT3_21rocsparse_index_base_b
    .private_segment_fixed_size: 0
    .sgpr_count:     18
    .sgpr_spill_count: 0
    .symbol:         _ZN9rocsparseL17coomvt_aos_kernelILj1024Ei21rocsparse_complex_numIfES1_IdES3_S3_EEv20rocsparse_operation_lNS_24const_host_device_scalarIT4_EEPKT0_PKT1_PKT2_PT3_21rocsparse_index_base_b.kd
    .uniform_work_group_size: 1
    .uses_dynamic_stack: false
    .vgpr_count:     19
    .vgpr_spill_count: 0
    .wavefront_size: 32
    .workgroup_processor_mode: 1
  - .args:
      - .offset:         0
        .size:           8
        .value_kind:     by_value
      - .offset:         8
        .size:           4
        .value_kind:     by_value
      - .offset:         16
        .size:           16
        .value_kind:     by_value
      - .actual_access:  read_only
        .address_space:  global
        .offset:         32
        .size:           8
        .value_kind:     global_buffer
      - .actual_access:  read_only
        .address_space:  global
        .offset:         40
        .size:           8
        .value_kind:     global_buffer
      - .actual_access:  read_only
        .address_space:  global
        .offset:         48
        .size:           8
        .value_kind:     global_buffer
      - .address_space:  global
        .offset:         56
        .size:           8
        .value_kind:     global_buffer
      - .actual_access:  write_only
        .address_space:  global
        .offset:         64
        .size:           8
        .value_kind:     global_buffer
      - .actual_access:  write_only
        .address_space:  global
        .offset:         72
        .size:           8
        .value_kind:     global_buffer
      - .offset:         80
        .size:           4
        .value_kind:     by_value
      - .offset:         84
        .size:           1
        .value_kind:     by_value
    .group_segment_fixed_size: 7168
    .kernarg_segment_align: 8
    .kernarg_segment_size: 88
    .language:       OpenCL C
    .language_version:
      - 2
      - 0
    .max_flat_workgroup_size: 256
    .name:           _ZN9rocsparseL26coomvn_aos_segmented_loopsILj256Ei21rocsparse_complex_numIfES1_IdES3_S3_EEvlT0_NS_24const_host_device_scalarIT4_EEPKS4_PKT1_PKT2_PT3_PS4_PS6_21rocsparse_index_base_b
    .private_segment_fixed_size: 0
    .sgpr_count:     32
    .sgpr_spill_count: 0
    .symbol:         _ZN9rocsparseL26coomvn_aos_segmented_loopsILj256Ei21rocsparse_complex_numIfES1_IdES3_S3_EEvlT0_NS_24const_host_device_scalarIT4_EEPKS4_PKT1_PKT2_PT3_PS4_PS6_21rocsparse_index_base_b.kd
    .uniform_work_group_size: 1
    .uses_dynamic_stack: false
    .vgpr_count:     43
    .vgpr_spill_count: 0
    .wavefront_size: 32
    .workgroup_processor_mode: 1
  - .args:
      - .offset:         0
        .size:           8
        .value_kind:     by_value
      - .offset:         8
        .size:           16
        .value_kind:     by_value
      - .actual_access:  read_only
        .address_space:  global
        .offset:         24
        .size:           8
        .value_kind:     global_buffer
      - .actual_access:  read_only
        .address_space:  global
        .offset:         32
        .size:           8
        .value_kind:     global_buffer
      - .actual_access:  read_only
        .address_space:  global
        .offset:         40
        .size:           8
        .value_kind:     global_buffer
      - .address_space:  global
        .offset:         48
        .size:           8
        .value_kind:     global_buffer
      - .offset:         56
        .size:           4
        .value_kind:     by_value
      - .offset:         60
        .size:           1
        .value_kind:     by_value
    .group_segment_fixed_size: 8192
    .kernarg_segment_align: 8
    .kernarg_segment_size: 64
    .language:       OpenCL C
    .language_version:
      - 2
      - 0
    .max_flat_workgroup_size: 256
    .name:           _ZN9rocsparseL23coomvn_aos_atomic_loopsILj256ELj1El21rocsparse_complex_numIfES1_IdES3_S3_EEvlNS_24const_host_device_scalarIT5_EEPKT1_PKT2_PKT3_PT4_21rocsparse_index_base_b
    .private_segment_fixed_size: 0
    .sgpr_count:     18
    .sgpr_spill_count: 0
    .symbol:         _ZN9rocsparseL23coomvn_aos_atomic_loopsILj256ELj1El21rocsparse_complex_numIfES1_IdES3_S3_EEvlNS_24const_host_device_scalarIT5_EEPKT1_PKT2_PKT3_PT4_21rocsparse_index_base_b.kd
    .uniform_work_group_size: 1
    .uses_dynamic_stack: false
    .vgpr_count:     19
    .vgpr_spill_count: 0
    .wavefront_size: 32
    .workgroup_processor_mode: 1
  - .args:
      - .offset:         0
        .size:           4
        .value_kind:     by_value
      - .offset:         8
        .size:           8
        .value_kind:     by_value
      - .offset:         16
        .size:           16
        .value_kind:     by_value
      - .actual_access:  read_only
        .address_space:  global
        .offset:         32
        .size:           8
        .value_kind:     global_buffer
      - .actual_access:  read_only
        .address_space:  global
        .offset:         40
        .size:           8
        .value_kind:     global_buffer
      - .actual_access:  read_only
        .address_space:  global
        .offset:         48
        .size:           8
        .value_kind:     global_buffer
      - .address_space:  global
        .offset:         56
        .size:           8
        .value_kind:     global_buffer
      - .offset:         64
        .size:           4
        .value_kind:     by_value
      - .offset:         68
        .size:           1
        .value_kind:     by_value
      - .offset:         72
        .size:           4
        .value_kind:     hidden_block_count_x
      - .offset:         76
        .size:           4
        .value_kind:     hidden_block_count_y
      - .offset:         80
        .size:           4
        .value_kind:     hidden_block_count_z
      - .offset:         84
        .size:           2
        .value_kind:     hidden_group_size_x
      - .offset:         86
        .size:           2
        .value_kind:     hidden_group_size_y
      - .offset:         88
        .size:           2
        .value_kind:     hidden_group_size_z
      - .offset:         90
        .size:           2
        .value_kind:     hidden_remainder_x
      - .offset:         92
        .size:           2
        .value_kind:     hidden_remainder_y
      - .offset:         94
        .size:           2
        .value_kind:     hidden_remainder_z
      - .offset:         112
        .size:           8
        .value_kind:     hidden_global_offset_x
      - .offset:         120
        .size:           8
        .value_kind:     hidden_global_offset_y
      - .offset:         128
        .size:           8
        .value_kind:     hidden_global_offset_z
      - .offset:         136
        .size:           2
        .value_kind:     hidden_grid_dims
    .group_segment_fixed_size: 8192
    .kernarg_segment_align: 8
    .kernarg_segment_size: 328
    .language:       OpenCL C
    .language_version:
      - 2
      - 0
    .max_flat_workgroup_size: 1024
    .name:           _ZN9rocsparseL17coomvt_aos_kernelILj1024El21rocsparse_complex_numIfES1_IdES3_S3_EEv20rocsparse_operation_lNS_24const_host_device_scalarIT4_EEPKT0_PKT1_PKT2_PT3_21rocsparse_index_base_b
    .private_segment_fixed_size: 0
    .sgpr_count:     18
    .sgpr_spill_count: 0
    .symbol:         _ZN9rocsparseL17coomvt_aos_kernelILj1024El21rocsparse_complex_numIfES1_IdES3_S3_EEv20rocsparse_operation_lNS_24const_host_device_scalarIT4_EEPKT0_PKT1_PKT2_PT3_21rocsparse_index_base_b.kd
    .uniform_work_group_size: 1
    .uses_dynamic_stack: false
    .vgpr_count:     18
    .vgpr_spill_count: 0
    .wavefront_size: 32
    .workgroup_processor_mode: 1
  - .args:
      - .offset:         0
        .size:           8
        .value_kind:     by_value
      - .offset:         8
        .size:           8
        .value_kind:     by_value
      - .offset:         16
        .size:           16
        .value_kind:     by_value
      - .actual_access:  read_only
        .address_space:  global
        .offset:         32
        .size:           8
        .value_kind:     global_buffer
      - .actual_access:  read_only
        .address_space:  global
        .offset:         40
        .size:           8
        .value_kind:     global_buffer
      - .actual_access:  read_only
        .address_space:  global
        .offset:         48
        .size:           8
        .value_kind:     global_buffer
      - .address_space:  global
        .offset:         56
        .size:           8
        .value_kind:     global_buffer
      - .actual_access:  write_only
        .address_space:  global
        .offset:         64
        .size:           8
        .value_kind:     global_buffer
      - .actual_access:  write_only
        .address_space:  global
        .offset:         72
        .size:           8
        .value_kind:     global_buffer
      - .offset:         80
        .size:           4
        .value_kind:     by_value
      - .offset:         84
        .size:           1
        .value_kind:     by_value
    .group_segment_fixed_size: 8192
    .kernarg_segment_align: 8
    .kernarg_segment_size: 88
    .language:       OpenCL C
    .language_version:
      - 2
      - 0
    .max_flat_workgroup_size: 256
    .name:           _ZN9rocsparseL26coomvn_aos_segmented_loopsILj256El21rocsparse_complex_numIfES1_IdES3_S3_EEvlT0_NS_24const_host_device_scalarIT4_EEPKS4_PKT1_PKT2_PT3_PS4_PS6_21rocsparse_index_base_b
    .private_segment_fixed_size: 0
    .sgpr_count:     40
    .sgpr_spill_count: 0
    .symbol:         _ZN9rocsparseL26coomvn_aos_segmented_loopsILj256El21rocsparse_complex_numIfES1_IdES3_S3_EEvlT0_NS_24const_host_device_scalarIT4_EEPKS4_PKT1_PKT2_PT3_PS4_PS6_21rocsparse_index_base_b.kd
    .uniform_work_group_size: 1
    .uses_dynamic_stack: false
    .vgpr_count:     46
    .vgpr_spill_count: 0
    .wavefront_size: 32
    .workgroup_processor_mode: 1
amdhsa.target:   amdgcn-amd-amdhsa--gfx1100
amdhsa.version:
  - 1
  - 2
...

	.end_amdgpu_metadata
